;; amdgpu-corpus repo=ROCm/rocFFT kind=compiled arch=gfx950 opt=O3
	.text
	.amdgcn_target "amdgcn-amd-amdhsa--gfx950"
	.amdhsa_code_object_version 6
	.protected	bluestein_single_fwd_len204_dim1_dp_op_CI_CI ; -- Begin function bluestein_single_fwd_len204_dim1_dp_op_CI_CI
	.globl	bluestein_single_fwd_len204_dim1_dp_op_CI_CI
	.p2align	8
	.type	bluestein_single_fwd_len204_dim1_dp_op_CI_CI,@function
bluestein_single_fwd_len204_dim1_dp_op_CI_CI: ; @bluestein_single_fwd_len204_dim1_dp_op_CI_CI
; %bb.0:
	s_load_dwordx4 s[8:11], s[0:1], 0x28
	v_mul_u32_u24_e32 v1, 0xf10, v0
	v_lshrrev_b32_e32 v2, 16, v1
	v_mad_u64_u32 v[224:225], s[2:3], s2, 7, v[2:3]
	v_mov_b32_e32 v179, 0
	v_mov_b32_e32 v225, v179
	s_waitcnt lgkmcnt(0)
	v_cmp_gt_u64_e32 vcc, s[8:9], v[224:225]
	s_and_saveexec_b64 s[2:3], vcc
	s_cbranch_execz .LBB0_15
; %bb.1:
	v_mul_lo_u16_e32 v1, 17, v2
	s_mov_b32 s4, 0x24924925
	v_sub_u16_e32 v178, v0, v1
	v_mul_hi_u32 v0, v224, s4
	v_sub_u32_e32 v1, v224, v0
	v_lshrrev_b32_e32 v1, 1, v1
	v_add_u32_e32 v0, v1, v0
	s_load_dwordx2 s[2:3], s[0:1], 0x0
	s_load_dwordx2 s[8:9], s[0:1], 0x38
	v_lshrrev_b32_e32 v0, 2, v0
	v_mul_lo_u32 v0, v0, 7
	v_sub_u32_e32 v0, v224, v0
	v_mul_u32_u24_e32 v223, 0xcc, v0
	v_or_b32_e32 v0, 48, v178
	v_cmp_gt_u16_e32 vcc, 12, v178
	v_lshlrev_b32_e32 v222, 4, v178
	v_lshlrev_b32_e32 v225, 4, v223
	v_accvgpr_write_b32 a2, v0
	s_and_saveexec_b64 s[12:13], vcc
	s_cbranch_execz .LBB0_3
; %bb.2:
	s_load_dwordx2 s[4:5], s[0:1], 0x18
	v_mov_b32_e32 v0, s10
	v_mov_b32_e32 v1, s11
	v_accvgpr_read_b32 v75, a2
	v_or_b32_e32 v77, 0x60, v178
	s_waitcnt lgkmcnt(0)
	s_load_dwordx4 s[4:7], s[4:5], 0x0
	v_mov_b32_e32 v57, 0xc0
	v_or_b32_e32 v85, 0x90, v178
	v_mov_b32_e32 v59, 0x180
	v_lshl_add_u32 v58, v178, 4, v225
	s_waitcnt lgkmcnt(0)
	v_mad_u64_u32 v[2:3], s[10:11], s6, v224, 0
	v_mad_u64_u32 v[4:5], s[10:11], s4, v178, 0
	v_mov_b32_e32 v6, v3
	v_mov_b32_e32 v8, v5
	v_mad_u64_u32 v[6:7], s[6:7], s7, v224, v[6:7]
	v_mov_b32_e32 v3, v6
	v_mad_u64_u32 v[6:7], s[6:7], s5, v178, v[8:9]
	v_mad_u64_u32 v[72:73], s[6:7], s4, v75, 0
	v_mov_b32_e32 v5, v6
	v_lshl_add_u64 v[52:53], v[2:3], 4, v[0:1]
	v_mov_b32_e32 v74, v73
	v_lshl_add_u64 v[54:55], v[4:5], 4, v[52:53]
	v_mad_u64_u32 v[88:89], s[6:7], s4, v77, 0
	v_mad_u64_u32 v[74:75], s[6:7], s5, v75, v[74:75]
	global_load_dwordx4 v[0:3], v[54:55], off
	global_load_dwordx4 v[4:7], v222, s[2:3]
	s_mul_i32 s10, s5, 0xc0
	v_mov_b32_e32 v76, v89
	v_mad_u64_u32 v[54:55], s[6:7], s4, v57, v[54:55]
	v_mov_b32_e32 v73, v74
	v_add_u32_e32 v55, s10, v55
	v_lshl_add_u64 v[72:73], v[72:73], 4, v[52:53]
	v_mad_u64_u32 v[90:91], s[6:7], s5, v77, v[76:77]
	global_load_dwordx4 v[8:11], v222, s[2:3] offset:192
	global_load_dwordx4 v[12:15], v222, s[2:3] offset:384
	;; [unrolled: 1-line block ×11, first 2 shown]
	global_load_dwordx4 v[60:63], v[54:55], off
	v_mov_b32_e32 v89, v90
	global_load_dwordx4 v[72:75], v[72:73], off
	v_mad_u64_u32 v[54:55], s[6:7], s4, v57, v[54:55]
	v_add_u32_e32 v55, s10, v55
	v_lshl_add_u64 v[88:89], v[88:89], 4, v[52:53]
	v_mad_u64_u32 v[106:107], s[6:7], s4, v85, 0
	global_load_dwordx4 v[64:67], v[54:55], off
	v_mov_b32_e32 v84, v107
	global_load_dwordx4 v[88:91], v[88:89], off
	v_mad_u64_u32 v[54:55], s[6:7], s4, v57, v[54:55]
	v_add_u32_e32 v55, s10, v55
	global_load_dwordx4 v[68:71], v[54:55], off
	v_mad_u64_u32 v[108:109], s[6:7], s5, v85, v[84:85]
	v_mov_b32_e32 v107, v108
	v_lshl_add_u64 v[106:107], v[106:107], 4, v[52:53]
	global_load_dwordx4 v[108:111], v[106:107], off
	s_mul_i32 s11, s5, 0x180
	v_mad_u64_u32 v[54:55], s[6:7], s4, v59, v[54:55]
	v_add_u32_e32 v55, s11, v55
	global_load_dwordx4 v[76:79], v[54:55], off
	v_mad_u64_u32 v[54:55], s[6:7], s4, v57, v[54:55]
	v_add_u32_e32 v55, s10, v55
	global_load_dwordx4 v[80:83], v[54:55], off
	;; [unrolled: 3-line block ×7, first 2 shown]
	global_load_dwordx4 v[116:119], v222, s[2:3] offset:2304
	global_load_dwordx4 v[120:123], v222, s[2:3] offset:2496
	v_mad_u64_u32 v[54:55], s[6:7], s4, v57, v[54:55]
	v_add_u32_e32 v55, s10, v55
	global_load_dwordx4 v[124:127], v[54:55], off
	v_mad_u64_u32 v[54:55], s[6:7], s4, v57, v[54:55]
	v_add_u32_e32 v55, s10, v55
	v_or_b32_e32 v57, 0xc0, v178
	global_load_dwordx4 v[128:131], v[54:55], off
	global_load_dwordx4 v[132:135], v222, s[2:3] offset:2688
	global_load_dwordx4 v[136:139], v222, s[2:3] offset:2880
	v_mad_u64_u32 v[54:55], s[6:7], s4, v57, 0
	v_mov_b32_e32 v106, v55
	v_mad_u64_u32 v[106:107], s[4:5], s5, v57, v[106:107]
	v_mov_b32_e32 v55, v106
	v_lshl_add_u64 v[52:53], v[54:55], 4, v[52:53]
	global_load_dwordx4 v[52:55], v[52:53], off
	s_nop 0
	global_load_dwordx4 v[140:143], v222, s[2:3] offset:3072
	s_waitcnt vmcnt(32)
	v_mul_f64 v[104:105], v[2:3], v[6:7]
	v_mul_f64 v[6:7], v[0:1], v[6:7]
	v_fmac_f64_e32 v[104:105], v[0:1], v[4:5]
	v_fma_f64 v[106:107], v[2:3], v[4:5], -v[6:7]
	v_add_u32_e32 v56, v225, v222
	ds_write_b128 v58, v[104:107]
	s_waitcnt vmcnt(20)
	v_mul_f64 v[0:1], v[62:63], v[10:11]
	v_mul_f64 v[2:3], v[60:61], v[10:11]
	v_fmac_f64_e32 v[0:1], v[60:61], v[8:9]
	v_fma_f64 v[2:3], v[62:63], v[8:9], -v[2:3]
	ds_write_b128 v56, v[0:3] offset:192
	s_waitcnt vmcnt(18)
	v_mul_f64 v[0:1], v[66:67], v[14:15]
	v_mul_f64 v[2:3], v[64:65], v[14:15]
	v_fmac_f64_e32 v[0:1], v[64:65], v[12:13]
	v_fma_f64 v[2:3], v[66:67], v[12:13], -v[2:3]
	ds_write_b128 v56, v[0:3] offset:384
	s_waitcnt vmcnt(16)
	v_mul_f64 v[0:1], v[68:69], v[18:19]
	v_fma_f64 v[2:3], v[70:71], v[16:17], -v[0:1]
	v_mul_f64 v[0:1], v[70:71], v[18:19]
	v_fmac_f64_e32 v[0:1], v[68:69], v[16:17]
	ds_write_b128 v56, v[0:3] offset:576
	v_mul_f64 v[0:1], v[74:75], v[22:23]
	v_mul_f64 v[2:3], v[72:73], v[22:23]
	v_fmac_f64_e32 v[0:1], v[72:73], v[20:21]
	v_fma_f64 v[2:3], v[74:75], v[20:21], -v[2:3]
	ds_write_b128 v56, v[0:3] offset:768
	s_waitcnt vmcnt(14)
	v_mul_f64 v[0:1], v[78:79], v[26:27]
	v_mul_f64 v[2:3], v[76:77], v[26:27]
	v_fmac_f64_e32 v[0:1], v[76:77], v[24:25]
	v_fma_f64 v[2:3], v[78:79], v[24:25], -v[2:3]
	ds_write_b128 v56, v[0:3] offset:960
	s_waitcnt vmcnt(13)
	;; [unrolled: 6-line block ×3, first 2 shown]
	v_mul_f64 v[0:1], v[86:87], v[34:35]
	v_mul_f64 v[2:3], v[84:85], v[34:35]
	v_fmac_f64_e32 v[0:1], v[84:85], v[32:33]
	v_fma_f64 v[2:3], v[86:87], v[32:33], -v[2:3]
	ds_write_b128 v56, v[0:3] offset:1344
	v_mul_f64 v[0:1], v[90:91], v[38:39]
	v_mul_f64 v[2:3], v[88:89], v[38:39]
	v_fmac_f64_e32 v[0:1], v[88:89], v[36:37]
	v_fma_f64 v[2:3], v[90:91], v[36:37], -v[2:3]
	ds_write_b128 v56, v[0:3] offset:1536
	s_waitcnt vmcnt(11)
	v_mul_f64 v[0:1], v[94:95], v[42:43]
	v_mul_f64 v[2:3], v[92:93], v[42:43]
	v_fmac_f64_e32 v[0:1], v[92:93], v[40:41]
	v_fma_f64 v[2:3], v[94:95], v[40:41], -v[2:3]
	ds_write_b128 v56, v[0:3] offset:1728
	s_waitcnt vmcnt(10)
	;; [unrolled: 6-line block ×8, first 2 shown]
	v_mul_f64 v[0:1], v[54:55], v[142:143]
	v_mul_f64 v[2:3], v[52:53], v[142:143]
	v_fmac_f64_e32 v[0:1], v[52:53], v[140:141]
	v_fma_f64 v[2:3], v[54:55], v[140:141], -v[2:3]
	ds_write_b128 v56, v[0:3] offset:3072
.LBB0_3:
	s_or_b64 exec, exec, s[12:13]
	s_load_dwordx2 s[4:5], s[0:1], 0x20
	s_load_dwordx2 s[10:11], s[0:1], 0x8
	s_waitcnt lgkmcnt(0)
	s_barrier
	s_waitcnt lgkmcnt(0)
                                        ; implicit-def: $vgpr20_vgpr21
                                        ; implicit-def: $vgpr24_vgpr25
                                        ; implicit-def: $vgpr32_vgpr33
                                        ; implicit-def: $vgpr40_vgpr41
                                        ; implicit-def: $vgpr52_vgpr53
                                        ; implicit-def: $vgpr60_vgpr61
                                        ; implicit-def: $vgpr68_vgpr69
                                        ; implicit-def: $vgpr72_vgpr73
                                        ; implicit-def: $vgpr76_vgpr77
                                        ; implicit-def: $vgpr80_vgpr81
                                        ; implicit-def: $vgpr84_vgpr85
                                        ; implicit-def: $vgpr64_vgpr65
                                        ; implicit-def: $vgpr56_vgpr57
                                        ; implicit-def: $vgpr48_vgpr49
                                        ; implicit-def: $vgpr44_vgpr45
                                        ; implicit-def: $vgpr36_vgpr37
                                        ; implicit-def: $vgpr28_vgpr29
	s_and_saveexec_b64 s[0:1], vcc
	s_cbranch_execz .LBB0_5
; %bb.4:
	v_lshlrev_b32_e32 v0, 4, v178
	v_lshl_add_u32 v0, v223, 4, v0
	ds_read_b128 v[20:23], v0
	ds_read_b128 v[28:31], v0 offset:192
	ds_read_b128 v[36:39], v0 offset:384
	;; [unrolled: 1-line block ×16, first 2 shown]
.LBB0_5:
	s_or_b64 exec, exec, s[0:1]
	s_mov_b32 s20, 0x5d8e7cdc
	s_waitcnt lgkmcnt(0)
	v_add_f64 v[104:105], v[30:31], -v[86:87]
	s_mov_b32 s0, 0x370991
	s_mov_b32 s21, 0xbfd71e95
	;; [unrolled: 1-line block ×3, first 2 shown]
	v_add_f64 v[132:133], v[84:85], v[28:29]
	v_add_f64 v[108:109], v[28:29], -v[84:85]
	s_mov_b32 s1, 0x3fedd6d0
	v_mul_f64 v[98:99], v[104:105], s[20:21]
	s_mov_b32 s16, 0x75d4884
	s_mov_b32 s25, 0xbfe58eea
	v_add_f64 v[106:107], v[38:39], -v[82:83]
	v_add_f64 v[134:135], v[86:87], v[30:31]
	v_mul_f64 v[100:101], v[108:109], s[20:21]
	v_fma_f64 v[0:1], s[0:1], v[132:133], v[98:99]
	s_mov_b32 s17, 0x3fe7a5f6
	s_mov_b32 s28, 0x7c9e640b
	v_add_f64 v[140:141], v[80:81], v[36:37]
	v_add_f64 v[110:111], v[36:37], -v[80:81]
	v_mul_f64 v[102:103], v[106:107], s[24:25]
	v_add_f64 v[0:1], v[20:21], v[0:1]
	v_fma_f64 v[2:3], v[134:135], s[0:1], -v[100:101]
	s_mov_b32 s6, 0x2b2883cd
	s_mov_b32 s29, 0xbfeca52d
	v_add_f64 v[144:145], v[82:83], v[38:39]
	v_mul_f64 v[244:245], v[110:111], s[24:25]
	v_fma_f64 v[4:5], s[16:17], v[140:141], v[102:103]
	v_add_f64 v[114:115], v[26:27], -v[78:79]
	v_add_f64 v[2:3], v[22:23], v[2:3]
	s_mov_b32 s7, 0x3fdc86fa
	v_add_f64 v[0:1], v[4:5], v[0:1]
	v_fma_f64 v[4:5], v[144:145], s[16:17], -v[244:245]
	v_add_f64 v[150:151], v[24:25], v[76:77]
	v_add_f64 v[112:113], v[24:25], -v[76:77]
	v_mul_f64 v[246:247], v[114:115], s[28:29]
	s_mov_b32 s34, 0xeb564b22
	v_add_f64 v[2:3], v[4:5], v[2:3]
	v_add_f64 v[152:153], v[26:27], v[78:79]
	v_mul_f64 v[248:249], v[112:113], s[28:29]
	v_fma_f64 v[4:5], s[6:7], v[150:151], v[246:247]
	s_mov_b32 s35, 0xbfefdd0d
	v_add_f64 v[0:1], v[4:5], v[0:1]
	v_fma_f64 v[4:5], v[152:153], s[6:7], -v[248:249]
	v_add_f64 v[118:119], v[34:35], -v[74:75]
	s_mov_b32 s14, 0x3259b75e
	v_add_f64 v[2:3], v[4:5], v[2:3]
	v_mul_f64 v[4:5], v[118:119], s[34:35]
	s_mov_b32 s15, 0x3fb79ee6
	v_add_f64 v[156:157], v[32:33], v[72:73]
	v_add_f64 v[116:117], v[32:33], -v[72:73]
	v_accvgpr_write_b32 a0, v4
	s_mov_b32 s36, 0x923c349f
	v_add_f64 v[158:159], v[34:35], v[74:75]
	v_mul_f64 v[6:7], v[116:117], s[34:35]
	v_accvgpr_write_b32 a1, v5
	v_fma_f64 v[4:5], s[14:15], v[156:157], v[4:5]
	s_mov_b32 s37, 0xbfeec746
	v_add_f64 v[0:1], v[4:5], v[0:1]
	v_fma_f64 v[4:5], v[158:159], s[14:15], -v[6:7]
	v_add_f64 v[232:233], v[46:47], -v[70:71]
	s_mov_b32 s12, 0xc61f0d01
	v_add_f64 v[2:3], v[4:5], v[2:3]
	v_mul_f64 v[4:5], v[232:233], s[36:37]
	s_mov_b32 s13, 0xbfd183b1
	v_add_f64 v[162:163], v[68:69], v[44:45]
	v_accvgpr_write_b32 a19, v5
	v_accvgpr_write_b32 a18, v4
	v_fma_f64 v[4:5], s[12:13], v[162:163], v[4:5]
	v_add_f64 v[226:227], v[44:45], -v[68:69]
	v_add_f64 v[0:1], v[4:5], v[0:1]
	v_mul_f64 v[4:5], v[226:227], s[36:37]
	v_add_f64 v[166:167], v[70:71], v[46:47]
	v_accvgpr_write_b32 a21, v5
	s_mov_b32 s38, 0x6c9a05f6
	v_accvgpr_write_b32 a20, v4
	v_fma_f64 v[4:5], v[166:167], s[12:13], -v[4:5]
	s_mov_b32 s39, 0xbfe9895b
	v_add_f64 v[250:251], v[50:51], -v[62:63]
	v_add_f64 v[2:3], v[4:5], v[2:3]
	s_mov_b32 s18, 0x6ed5f1bb
	v_mul_f64 v[4:5], v[250:251], s[38:39]
	s_mov_b32 s19, 0xbfe348c8
	v_add_f64 v[168:169], v[60:61], v[48:49]
	v_accvgpr_write_b32 a23, v5
	v_accvgpr_write_b32 a22, v4
	v_fma_f64 v[4:5], s[18:19], v[168:169], v[4:5]
	v_add_f64 v[242:243], v[48:49], -v[60:61]
	v_add_f64 v[0:1], v[4:5], v[0:1]
	v_mul_f64 v[4:5], v[242:243], s[38:39]
	v_add_f64 v[172:173], v[62:63], v[50:51]
	v_accvgpr_write_b32 a25, v5
	s_mov_b32 s44, 0x4363dd80
	v_accvgpr_write_b32 a24, v4
	v_fma_f64 v[4:5], v[172:173], s[18:19], -v[4:5]
	s_mov_b32 s45, 0x3fe0d888
	s_mov_b32 s41, 0xbfe0d888
	;; [unrolled: 1-line block ×3, first 2 shown]
	v_add_f64 v[126:127], v[42:43], -v[66:67]
	v_add_f64 v[2:3], v[4:5], v[2:3]
	s_mov_b32 s22, 0x910ea3b9
	v_mul_f64 v[4:5], v[126:127], s[40:41]
	s_mov_b32 s23, 0xbfeb34fa
	v_add_f64 v[174:175], v[40:41], v[64:65]
	v_accvgpr_write_b32 a27, v5
	v_accvgpr_write_b32 a26, v4
	v_fma_f64 v[4:5], s[22:23], v[174:175], v[4:5]
	v_add_f64 v[124:125], v[40:41], -v[64:65]
	v_add_f64 v[0:1], v[4:5], v[0:1]
	v_mul_f64 v[4:5], v[124:125], s[40:41]
	v_add_f64 v[182:183], v[42:43], v[66:67]
	v_accvgpr_write_b32 a29, v5
	s_mov_b32 s42, 0xacd6c6b4
	v_accvgpr_write_b32 a28, v4
	v_fma_f64 v[4:5], v[182:183], s[22:23], -v[4:5]
	s_mov_b32 s43, 0xbfc7851a
	v_add_f64 v[154:155], v[54:55], -v[58:59]
	v_add_f64 v[2:3], v[4:5], v[2:3]
	s_mov_b32 s26, 0x7faef3
	v_mul_f64 v[4:5], v[154:155], s[42:43]
	s_mov_b32 s27, 0xbfef7484
	v_add_f64 v[194:195], v[52:53], v[56:57]
	v_accvgpr_write_b32 a31, v5
	v_accvgpr_write_b32 a30, v4
	v_fma_f64 v[4:5], s[26:27], v[194:195], v[4:5]
	v_add_f64 v[148:149], v[52:53], -v[56:57]
	v_add_f64 v[228:229], v[4:5], v[0:1]
	v_add_f64 v[200:201], v[54:55], v[58:59]
	v_mul_f64 v[0:1], v[148:149], s[42:43]
	v_accvgpr_write_b32 a17, v7
	v_fma_f64 v[4:5], v[200:201], s[26:27], -v[0:1]
	v_accvgpr_write_b32 a16, v6
	v_add_f64 v[230:231], v[4:5], v[2:3]
	v_mul_f64 v[2:3], v[104:105], s[24:25]
	v_mul_f64 v[6:7], v[106:107], s[34:35]
	v_fma_f64 v[4:5], s[16:17], v[132:133], v[2:3]
	v_accvgpr_write_b32 a33, v7
	v_add_f64 v[4:5], v[20:21], v[4:5]
	v_accvgpr_write_b32 a32, v6
	v_fma_f64 v[6:7], s[14:15], v[140:141], v[6:7]
	v_add_f64 v[4:5], v[6:7], v[4:5]
	v_mul_f64 v[6:7], v[108:109], s[24:25]
	v_accvgpr_write_b32 a39, v7
	v_mul_f64 v[8:9], v[110:111], s[34:35]
	v_accvgpr_write_b32 a38, v6
	v_fma_f64 v[6:7], v[134:135], s[16:17], -v[6:7]
	v_accvgpr_write_b32 a41, v9
	v_add_f64 v[6:7], v[22:23], v[6:7]
	v_accvgpr_write_b32 a40, v8
	v_fma_f64 v[8:9], v[144:145], s[14:15], -v[8:9]
	v_add_f64 v[6:7], v[8:9], v[6:7]
	v_mul_f64 v[8:9], v[114:115], s[38:39]
	v_accvgpr_write_b32 a35, v9
	v_accvgpr_write_b32 a34, v8
	v_fma_f64 v[8:9], s[18:19], v[150:151], v[8:9]
	v_add_f64 v[4:5], v[8:9], v[4:5]
	v_mul_f64 v[8:9], v[112:113], s[38:39]
	v_accvgpr_write_b32 a45, v9
	v_accvgpr_write_b32 a44, v8
	v_fma_f64 v[8:9], v[152:153], s[18:19], -v[8:9]
	v_add_f64 v[6:7], v[8:9], v[6:7]
	v_mul_f64 v[8:9], v[118:119], s[42:43]
	v_accvgpr_write_b32 a37, v9
	v_accvgpr_write_b32 a36, v8
	v_fma_f64 v[8:9], s[26:27], v[156:157], v[8:9]
	v_add_f64 v[4:5], v[8:9], v[4:5]
	v_mul_f64 v[8:9], v[116:117], s[42:43]
	v_accvgpr_write_b32 a49, v9
	;; [unrolled: 10-line block ×3, first 2 shown]
	v_accvgpr_write_b32 a52, v8
	v_fma_f64 v[8:9], v[166:167], s[22:23], -v[8:9]
	s_mov_b32 s47, 0x3feec746
	s_mov_b32 s46, s36
	v_add_f64 v[6:7], v[8:9], v[6:7]
	v_mul_f64 v[8:9], v[250:251], s[46:47]
	v_accvgpr_write_b32 a47, v9
	v_accvgpr_write_b32 a46, v8
	v_fma_f64 v[8:9], s[12:13], v[168:169], v[8:9]
	v_add_f64 v[4:5], v[8:9], v[4:5]
	v_mul_f64 v[8:9], v[242:243], s[46:47]
	v_accvgpr_write_b32 a57, v9
	v_accvgpr_write_b32 a56, v8
	v_fma_f64 v[8:9], v[172:173], s[12:13], -v[8:9]
	s_mov_b32 s49, 0x3feca52d
	s_mov_b32 s48, s28
	v_add_f64 v[6:7], v[8:9], v[6:7]
	v_mul_f64 v[8:9], v[126:127], s[48:49]
	v_accvgpr_write_b32 a51, v9
	v_accvgpr_write_b32 a50, v8
	v_fma_f64 v[8:9], s[6:7], v[174:175], v[8:9]
	v_add_f64 v[4:5], v[8:9], v[4:5]
	v_mul_f64 v[8:9], v[124:125], s[48:49]
	v_accvgpr_write_b32 a59, v9
	v_accvgpr_write_b32 a58, v8
	v_fma_f64 v[8:9], v[182:183], s[6:7], -v[8:9]
	s_mov_b32 s51, 0x3fd71e95
	s_mov_b32 s50, s20
	v_add_f64 v[6:7], v[8:9], v[6:7]
	v_mul_f64 v[8:9], v[154:155], s[50:51]
	v_accvgpr_write_b32 a55, v9
	v_accvgpr_write_b32 a54, v8
	v_fma_f64 v[8:9], s[0:1], v[194:195], v[8:9]
	v_add_f64 v[234:235], v[8:9], v[4:5]
	v_mul_f64 v[4:5], v[148:149], s[50:51]
	v_fma_f64 v[8:9], v[200:201], s[0:1], -v[4:5]
	v_add_f64 v[236:237], v[8:9], v[6:7]
	v_mul_f64 v[6:7], v[104:105], s[28:29]
	v_mul_f64 v[10:11], v[106:107], s[38:39]
	v_fma_f64 v[8:9], s[6:7], v[132:133], v[6:7]
	v_accvgpr_write_b32 a61, v11
	v_add_f64 v[8:9], v[20:21], v[8:9]
	v_accvgpr_write_b32 a60, v10
	v_fma_f64 v[10:11], s[18:19], v[140:141], v[10:11]
	v_add_f64 v[8:9], v[10:11], v[8:9]
	v_mul_f64 v[10:11], v[108:109], s[28:29]
	v_accvgpr_write_b32 a71, v11
	v_mul_f64 v[12:13], v[110:111], s[38:39]
	v_accvgpr_write_b32 a70, v10
	v_fma_f64 v[10:11], v[134:135], s[6:7], -v[10:11]
	v_accvgpr_write_b32 a75, v13
	v_add_f64 v[10:11], v[22:23], v[10:11]
	v_accvgpr_write_b32 a74, v12
	v_fma_f64 v[12:13], v[144:145], s[18:19], -v[12:13]
	s_mov_b32 s53, 0x3fc7851a
	s_mov_b32 s52, s42
	v_add_f64 v[10:11], v[12:13], v[10:11]
	v_mul_f64 v[12:13], v[114:115], s[52:53]
	v_accvgpr_write_b32 a63, v13
	v_accvgpr_write_b32 a62, v12
	v_fma_f64 v[12:13], s[26:27], v[150:151], v[12:13]
	v_add_f64 v[8:9], v[12:13], v[8:9]
	v_mul_f64 v[12:13], v[112:113], s[52:53]
	v_accvgpr_write_b32 a79, v13
	v_accvgpr_write_b32 a78, v12
	v_fma_f64 v[12:13], v[152:153], s[26:27], -v[12:13]
	v_add_f64 v[10:11], v[12:13], v[10:11]
	v_mul_f64 v[12:13], v[118:119], s[46:47]
	v_accvgpr_write_b32 a65, v13
	v_accvgpr_write_b32 a64, v12
	v_fma_f64 v[12:13], s[12:13], v[156:157], v[12:13]
	v_add_f64 v[8:9], v[12:13], v[8:9]
	v_mul_f64 v[12:13], v[116:117], s[46:47]
	v_accvgpr_write_b32 a89, v13
	v_accvgpr_write_b32 a88, v12
	v_fma_f64 v[12:13], v[158:159], s[12:13], -v[12:13]
	s_mov_b32 s55, 0x3fe58eea
	s_mov_b32 s54, s24
	v_add_f64 v[10:11], v[12:13], v[10:11]
	v_mul_f64 v[12:13], v[232:233], s[54:55]
	v_accvgpr_write_b32 a67, v13
	v_accvgpr_write_b32 a66, v12
	v_fma_f64 v[12:13], s[16:17], v[162:163], v[12:13]
	v_mul_f64 v[252:253], v[226:227], s[54:55]
	v_add_f64 v[8:9], v[12:13], v[8:9]
	v_fma_f64 v[12:13], v[166:167], s[16:17], -v[252:253]
	v_add_f64 v[10:11], v[12:13], v[10:11]
	v_mul_f64 v[12:13], v[250:251], s[20:21]
	v_accvgpr_write_b32 a69, v13
	v_accvgpr_write_b32 a68, v12
	v_fma_f64 v[12:13], s[0:1], v[168:169], v[12:13]
	v_mul_f64 v[254:255], v[242:243], s[20:21]
	v_add_f64 v[8:9], v[12:13], v[8:9]
	v_fma_f64 v[12:13], v[172:173], s[0:1], -v[254:255]
	v_add_f64 v[10:11], v[12:13], v[10:11]
	v_mul_f64 v[12:13], v[126:127], s[34:35]
	v_accvgpr_write_b32 a73, v13
	v_accvgpr_write_b32 a72, v12
	v_fma_f64 v[12:13], s[14:15], v[174:175], v[12:13]
	v_mul_f64 v[120:121], v[124:125], s[34:35]
	v_add_f64 v[8:9], v[12:13], v[8:9]
	v_fma_f64 v[12:13], v[182:183], s[14:15], -v[120:121]
	v_add_f64 v[10:11], v[12:13], v[10:11]
	v_mul_f64 v[12:13], v[154:155], s[40:41]
	v_accvgpr_write_b32 a77, v13
	v_accvgpr_write_b32 a76, v12
	v_fma_f64 v[12:13], s[22:23], v[194:195], v[12:13]
	v_mul_f64 v[122:123], v[148:149], s[40:41]
	v_add_f64 v[238:239], v[12:13], v[8:9]
	v_fma_f64 v[12:13], v[200:201], s[22:23], -v[122:123]
	v_mul_f64 v[128:129], v[104:105], s[34:35]
	v_add_f64 v[240:241], v[12:13], v[10:11]
	v_fma_f64 v[12:13], s[14:15], v[132:133], v[128:129]
	v_mul_f64 v[130:131], v[106:107], s[42:43]
	v_add_f64 v[12:13], v[20:21], v[12:13]
	v_fma_f64 v[14:15], s[26:27], v[140:141], v[130:131]
	v_mul_f64 v[142:143], v[108:109], s[34:35]
	v_add_f64 v[12:13], v[14:15], v[12:13]
	v_fma_f64 v[14:15], v[134:135], s[14:15], -v[142:143]
	v_mul_f64 v[160:161], v[110:111], s[42:43]
	v_add_f64 v[14:15], v[22:23], v[14:15]
	v_fma_f64 v[16:17], v[144:145], s[26:27], -v[160:161]
	v_mul_f64 v[136:137], v[114:115], s[46:47]
	v_add_f64 v[14:15], v[16:17], v[14:15]
	v_fma_f64 v[16:17], s[12:13], v[150:151], v[136:137]
	v_mul_f64 v[170:171], v[112:113], s[46:47]
	v_add_f64 v[12:13], v[16:17], v[12:13]
	v_fma_f64 v[16:17], v[152:153], s[12:13], -v[170:171]
	v_mul_f64 v[138:139], v[118:119], s[50:51]
	v_add_f64 v[14:15], v[16:17], v[14:15]
	v_fma_f64 v[16:17], s[0:1], v[156:157], v[138:139]
	;; [unrolled: 6-line block ×4, first 2 shown]
	v_mul_f64 v[190:191], v[242:243], s[40:41]
	s_mov_b32 s59, 0x3fe9895b
	s_mov_b32 s58, s38
	v_add_f64 v[12:13], v[16:17], v[12:13]
	v_fma_f64 v[16:17], v[172:173], s[22:23], -v[190:191]
	v_mul_f64 v[180:181], v[126:127], s[58:59]
	v_add_f64 v[14:15], v[16:17], v[14:15]
	v_fma_f64 v[16:17], s[18:19], v[174:175], v[180:181]
	v_mul_f64 v[192:193], v[124:125], s[58:59]
	v_add_f64 v[12:13], v[16:17], v[12:13]
	v_fma_f64 v[16:17], v[182:183], s[18:19], -v[192:193]
	v_mul_f64 v[186:187], v[154:155], s[54:55]
	v_add_f64 v[14:15], v[16:17], v[14:15]
	v_fma_f64 v[16:17], s[16:17], v[194:195], v[186:187]
	v_mul_f64 v[196:197], v[148:149], s[54:55]
	;; [unrolled: 6-line block ×3, first 2 shown]
	v_add_f64 v[16:17], v[20:21], v[16:17]
	v_fma_f64 v[18:19], s[22:23], v[140:141], v[202:203]
	v_mul_f64 v[208:209], v[108:109], s[36:37]
	v_add_f64 v[16:17], v[18:19], v[16:17]
	v_fma_f64 v[18:19], v[134:135], s[12:13], -v[208:209]
	v_mul_f64 v[90:91], v[110:111], s[44:45]
	v_add_f64 v[18:19], v[22:23], v[18:19]
	v_fma_f64 v[88:89], v[144:145], s[22:23], -v[90:91]
	v_mul_f64 v[204:205], v[114:115], s[54:55]
	v_add_f64 v[18:19], v[88:89], v[18:19]
	v_fma_f64 v[88:89], s[16:17], v[150:151], v[204:205]
	v_mul_f64 v[212:213], v[112:113], s[54:55]
	v_add_f64 v[16:17], v[88:89], v[16:17]
	v_fma_f64 v[88:89], v[152:153], s[16:17], -v[212:213]
	v_mul_f64 v[206:207], v[118:119], s[28:29]
	v_add_f64 v[18:19], v[88:89], v[18:19]
	v_fma_f64 v[88:89], s[6:7], v[156:157], v[206:207]
	v_mul_f64 v[216:217], v[116:117], s[28:29]
	v_add_f64 v[16:17], v[88:89], v[16:17]
	v_fma_f64 v[88:89], v[158:159], s[6:7], -v[216:217]
	v_add_f64 v[18:19], v[88:89], v[18:19]
	v_mul_f64 v[88:89], v[232:233], s[42:43]
	v_fma_f64 v[92:93], s[26:27], v[162:163], v[88:89]
	v_add_f64 v[16:17], v[92:93], v[16:17]
	v_mul_f64 v[92:93], v[226:227], s[42:43]
	s_mov_b32 s57, 0x3fefdd0d
	s_mov_b32 s56, s34
	v_fma_f64 v[94:95], v[166:167], s[26:27], -v[92:93]
	v_mul_f64 v[210:211], v[250:251], s[56:57]
	v_add_f64 v[18:19], v[94:95], v[18:19]
	v_fma_f64 v[94:95], s[14:15], v[168:169], v[210:211]
	v_add_f64 v[16:17], v[94:95], v[16:17]
	v_mul_f64 v[94:95], v[242:243], s[56:57]
	v_fma_f64 v[96:97], v[172:173], s[14:15], -v[94:95]
	v_mul_f64 v[214:215], v[126:127], s[20:21]
	v_add_f64 v[18:19], v[96:97], v[18:19]
	v_fma_f64 v[96:97], s[0:1], v[174:175], v[214:215]
	v_mul_f64 v[176:177], v[124:125], s[20:21]
	v_add_f64 v[16:17], v[96:97], v[16:17]
	v_fma_f64 v[96:97], v[182:183], s[0:1], -v[176:177]
	v_mul_f64 v[218:219], v[154:155], s[38:39]
	v_add_f64 v[18:19], v[96:97], v[18:19]
	v_fma_f64 v[96:97], s[18:19], v[194:195], v[218:219]
	v_mul_f64 v[220:221], v[148:149], s[38:39]
	v_add_f64 v[14:15], v[96:97], v[16:17]
	v_fma_f64 v[96:97], v[200:201], s[18:19], -v[220:221]
	v_add_f64 v[16:17], v[96:97], v[18:19]
	s_barrier
	s_and_saveexec_b64 s[30:31], vcc
	s_cbranch_execz .LBB0_7
; %bb.6:
	v_mul_f64 v[96:97], v[134:135], s[26:27]
	v_accvgpr_write_b32 a90, v98
	v_accvgpr_write_b32 a94, v100
	;; [unrolled: 1-line block ×3, first 2 shown]
	v_fma_f64 v[98:99], s[52:53], v[108:109], v[96:97]
	v_accvgpr_write_b32 a95, v101
	v_mul_f64 v[100:101], v[144:145], s[0:1]
	v_accvgpr_write_b32 a92, v102
	v_add_f64 v[98:99], v[22:23], v[98:99]
	v_accvgpr_write_b32 a93, v103
	v_fma_f64 v[102:103], s[20:21], v[110:111], v[100:101]
	v_add_f64 v[98:99], v[102:103], v[98:99]
	v_mul_f64 v[102:103], v[152:153], s[22:23]
	v_mov_b32_e32 v8, v222
	v_mov_b32_e32 v9, v223
	v_fma_f64 v[222:223], s[44:45], v[112:113], v[102:103]
	v_add_f64 v[98:99], v[222:223], v[98:99]
	v_mul_f64 v[222:223], v[158:159], s[16:17]
	v_accvgpr_write_b32 a8, v10
	v_accvgpr_write_b32 a9, v11
	;; [unrolled: 1-line block ×4, first 2 shown]
	v_mov_b32_e32 v10, v224
	v_mov_b32_e32 v11, v225
	v_fma_f64 v[224:225], s[24:25], v[116:117], v[222:223]
	v_add_f64 v[98:99], v[224:225], v[98:99]
	v_mul_f64 v[224:225], v[166:167], s[18:19]
	v_accvgpr_write_b32 a84, v228
	v_accvgpr_write_b32 a85, v229
	;; [unrolled: 1-line block ×4, first 2 shown]
	v_fma_f64 v[228:229], s[58:59], v[226:227], v[224:225]
	v_add_f64 v[98:99], v[228:229], v[98:99]
	v_mul_f64 v[228:229], v[172:173], s[6:7]
	v_accvgpr_write_b32 a12, v14
	v_fma_f64 v[230:231], s[28:29], v[242:243], v[228:229]
	v_accvgpr_write_b32 a13, v15
	v_accvgpr_write_b32 a14, v16
	;; [unrolled: 1-line block ×3, first 2 shown]
	v_add_f64 v[98:99], v[230:231], v[98:99]
	v_mul_f64 v[230:231], v[182:183], s[12:13]
	v_mov_b64_e32 v[16:17], v[234:235]
	v_mov_b64_e32 v[18:19], v[236:237]
	v_fma_f64 v[234:235], s[46:47], v[124:125], v[230:231]
	v_add_f64 v[98:99], v[234:235], v[98:99]
	v_mul_f64 v[234:235], v[104:105], s[42:43]
	v_accvgpr_write_b32 a4, v238
	v_fma_f64 v[236:237], s[26:27], v[132:133], v[234:235]
	v_accvgpr_write_b32 a5, v239
	v_accvgpr_write_b32 a6, v240
	;; [unrolled: 1-line block ×3, first 2 shown]
	v_mul_f64 v[238:239], v[106:107], s[50:51]
	v_add_f64 v[236:237], v[20:21], v[236:237]
	v_fma_f64 v[240:241], s[0:1], v[140:141], v[238:239]
	v_add_f64 v[236:237], v[240:241], v[236:237]
	v_mul_f64 v[240:241], v[114:115], s[40:41]
	v_accvgpr_write_b32 a102, v244
	v_accvgpr_write_b32 a103, v245
	v_fma_f64 v[244:245], s[22:23], v[150:151], v[240:241]
	v_add_f64 v[236:237], v[244:245], v[236:237]
	v_mul_f64 v[244:245], v[118:119], s[54:55]
	v_accvgpr_write_b32 a100, v246
	v_accvgpr_write_b32 a101, v247
	;; [unrolled: 5-line block ×3, first 2 shown]
	v_accvgpr_write_b32 a104, v0
	v_fma_f64 v[0:1], s[18:19], v[162:163], v[246:247]
	v_accvgpr_write_b32 a108, v2
	v_mul_f64 v[2:3], v[250:251], s[48:49]
	v_add_f64 v[0:1], v[0:1], v[236:237]
	v_fma_f64 v[236:237], s[6:7], v[168:169], v[2:3]
	v_add_f64 v[0:1], v[236:237], v[0:1]
	v_mul_f64 v[236:237], v[126:127], s[36:37]
	v_accvgpr_write_b32 a106, v248
	v_accvgpr_write_b32 a107, v249
	v_fma_f64 v[248:249], s[12:13], v[174:175], v[236:237]
	v_add_f64 v[0:1], v[248:249], v[0:1]
	v_mul_f64 v[248:249], v[200:201], s[14:15]
	v_accvgpr_write_b32 a111, v5
	v_accvgpr_write_b32 a110, v4
	v_fma_f64 v[4:5], s[34:35], v[148:149], v[248:249]
	v_add_f64 v[14:15], v[4:5], v[98:99]
	v_mul_f64 v[4:5], v[154:155], s[56:57]
	v_accvgpr_write_b32 a113, v7
	v_accvgpr_write_b32 a112, v6
	v_fma_f64 v[6:7], s[14:15], v[194:195], v[4:5]
	v_fmac_f64_e32 v[96:97], s[42:43], v[108:109]
	v_add_f64 v[12:13], v[6:7], v[0:1]
	v_fmac_f64_e32 v[100:101], s[50:51], v[110:111]
	v_add_f64 v[0:1], v[22:23], v[96:97]
	v_fma_f64 v[96:97], v[132:133], s[26:27], -v[234:235]
	v_add_f64 v[0:1], v[100:101], v[0:1]
	v_fmac_f64_e32 v[102:103], s[40:41], v[112:113]
	v_fma_f64 v[6:7], v[140:141], s[0:1], -v[238:239]
	v_add_f64 v[96:97], v[20:21], v[96:97]
	v_add_f64 v[0:1], v[102:103], v[0:1]
	v_fmac_f64_e32 v[222:223], s[54:55], v[116:117]
	v_add_f64 v[6:7], v[6:7], v[96:97]
	v_fma_f64 v[96:97], v[150:151], s[22:23], -v[240:241]
	v_add_f64 v[0:1], v[222:223], v[0:1]
	v_fmac_f64_e32 v[224:225], s[38:39], v[226:227]
	v_add_f64 v[6:7], v[96:97], v[6:7]
	v_fma_f64 v[96:97], v[156:157], s[16:17], -v[244:245]
	;; [unrolled: 4-line block ×4, first 2 shown]
	v_add_f64 v[0:1], v[230:231], v[0:1]
	v_add_f64 v[2:3], v[2:3], v[6:7]
	v_fma_f64 v[6:7], v[174:175], s[12:13], -v[236:237]
	v_fmac_f64_e32 v[248:249], s[56:57], v[148:149]
	v_add_f64 v[2:3], v[6:7], v[2:3]
	v_add_f64 v[6:7], v[248:249], v[0:1]
	v_fma_f64 v[0:1], v[194:195], s[14:15], -v[4:5]
	v_add_f64 v[4:5], v[0:1], v[2:3]
	v_accvgpr_write_b32 a99, v7
	v_mul_f64 v[0:1], v[134:135], s[22:23]
	v_accvgpr_write_b32 a98, v6
	v_accvgpr_write_b32 a97, v5
	;; [unrolled: 1-line block ×3, first 2 shown]
	v_fma_f64 v[2:3], s[44:45], v[108:109], v[0:1]
	v_mul_f64 v[4:5], v[144:145], s[6:7]
	v_add_f64 v[2:3], v[22:23], v[2:3]
	v_fma_f64 v[6:7], s[28:29], v[110:111], v[4:5]
	v_add_f64 v[2:3], v[6:7], v[2:3]
	v_mul_f64 v[6:7], v[152:153], s[14:15]
	v_fma_f64 v[96:97], s[56:57], v[112:113], v[6:7]
	v_mul_f64 v[100:101], v[158:159], s[18:19]
	v_add_f64 v[2:3], v[96:97], v[2:3]
	v_fma_f64 v[96:97], s[38:39], v[116:117], v[100:101]
	v_mul_f64 v[102:103], v[166:167], s[0:1]
	v_add_f64 v[2:3], v[96:97], v[2:3]
	;; [unrolled: 3-line block ×4, first 2 shown]
	v_fma_f64 v[96:97], s[24:25], v[124:125], v[224:225]
	v_mul_f64 v[228:229], v[104:105], s[40:41]
	v_fmac_f64_e32 v[0:1], s[40:41], v[108:109]
	v_add_f64 v[2:3], v[96:97], v[2:3]
	v_fma_f64 v[96:97], s[22:23], v[132:133], v[228:229]
	v_mul_f64 v[230:231], v[106:107], s[48:49]
	v_fmac_f64_e32 v[4:5], s[48:49], v[110:111]
	v_add_f64 v[0:1], v[22:23], v[0:1]
	v_add_f64 v[96:97], v[20:21], v[96:97]
	v_fma_f64 v[98:99], s[6:7], v[140:141], v[230:231]
	v_mul_f64 v[234:235], v[114:115], s[34:35]
	v_add_f64 v[0:1], v[4:5], v[0:1]
	v_fmac_f64_e32 v[6:7], s[34:35], v[112:113]
	v_add_f64 v[96:97], v[98:99], v[96:97]
	v_fma_f64 v[98:99], s[14:15], v[150:151], v[234:235]
	v_mul_f64 v[236:237], v[118:119], s[58:59]
	v_add_f64 v[0:1], v[6:7], v[0:1]
	v_fma_f64 v[6:7], v[132:133], s[22:23], -v[228:229]
	v_add_f64 v[96:97], v[98:99], v[96:97]
	v_fma_f64 v[98:99], s[18:19], v[156:157], v[236:237]
	v_mul_f64 v[238:239], v[232:233], s[20:21]
	v_fma_f64 v[4:5], v[140:141], s[6:7], -v[230:231]
	v_add_f64 v[6:7], v[20:21], v[6:7]
	v_add_f64 v[96:97], v[98:99], v[96:97]
	v_fma_f64 v[98:99], s[0:1], v[162:163], v[238:239]
	v_mul_f64 v[240:241], v[250:251], s[42:43]
	v_fmac_f64_e32 v[100:101], s[58:59], v[116:117]
	v_add_f64 v[4:5], v[4:5], v[6:7]
	v_fma_f64 v[6:7], v[150:151], s[14:15], -v[234:235]
	v_add_f64 v[96:97], v[98:99], v[96:97]
	v_fma_f64 v[98:99], s[26:27], v[168:169], v[240:241]
	v_mul_f64 v[244:245], v[126:127], s[54:55]
	v_add_f64 v[0:1], v[100:101], v[0:1]
	v_fmac_f64_e32 v[102:103], s[20:21], v[226:227]
	v_add_f64 v[4:5], v[6:7], v[4:5]
	v_fma_f64 v[6:7], v[156:157], s[18:19], -v[236:237]
	v_add_f64 v[96:97], v[98:99], v[96:97]
	v_fma_f64 v[98:99], s[16:17], v[174:175], v[244:245]
	v_mul_f64 v[246:247], v[200:201], s[12:13]
	v_add_f64 v[0:1], v[102:103], v[0:1]
	v_fmac_f64_e32 v[222:223], s[42:43], v[242:243]
	v_add_f64 v[4:5], v[6:7], v[4:5]
	v_fma_f64 v[6:7], v[162:163], s[0:1], -v[238:239]
	v_add_f64 v[96:97], v[98:99], v[96:97]
	v_fma_f64 v[98:99], s[46:47], v[148:149], v[246:247]
	v_add_f64 v[0:1], v[222:223], v[0:1]
	v_fmac_f64_e32 v[224:225], s[54:55], v[124:125]
	v_add_f64 v[4:5], v[6:7], v[4:5]
	v_fma_f64 v[6:7], v[168:169], s[26:27], -v[240:241]
	v_add_f64 v[98:99], v[98:99], v[2:3]
	v_mul_f64 v[2:3], v[154:155], s[36:37]
	v_add_f64 v[0:1], v[224:225], v[0:1]
	v_add_f64 v[4:5], v[6:7], v[4:5]
	v_fma_f64 v[6:7], v[174:175], s[16:17], -v[244:245]
	v_fmac_f64_e32 v[246:247], s[36:37], v[148:149]
	v_add_f64 v[4:5], v[6:7], v[4:5]
	v_add_f64 v[102:103], v[246:247], v[0:1]
	v_fma_f64 v[0:1], v[194:195], s[12:13], -v[2:3]
	v_add_f64 v[100:101], v[0:1], v[4:5]
	v_mul_f64 v[0:1], v[134:135], s[18:19]
	v_fma_f64 v[248:249], s[12:13], v[194:195], v[2:3]
	v_fma_f64 v[2:3], s[58:59], v[108:109], v[0:1]
	v_mul_f64 v[4:5], v[144:145], s[12:13]
	v_add_f64 v[2:3], v[22:23], v[2:3]
	v_fma_f64 v[6:7], s[36:37], v[110:111], v[4:5]
	v_add_f64 v[2:3], v[6:7], v[2:3]
	v_mul_f64 v[6:7], v[152:153], s[0:1]
	v_fma_f64 v[222:223], s[50:51], v[112:113], v[6:7]
	v_add_f64 v[2:3], v[222:223], v[2:3]
	v_mul_f64 v[222:223], v[158:159], s[22:23]
	;; [unrolled: 3-line block ×5, first 2 shown]
	v_fma_f64 v[234:235], s[52:53], v[124:125], v[230:231]
	v_mul_f64 v[236:237], v[104:105], s[38:39]
	v_fmac_f64_e32 v[0:1], s[38:39], v[108:109]
	v_add_f64 v[2:3], v[234:235], v[2:3]
	v_mul_f64 v[234:235], v[106:107], s[46:47]
	v_fma_f64 v[104:105], s[18:19], v[132:133], v[236:237]
	v_fmac_f64_e32 v[4:5], s[46:47], v[110:111]
	v_add_f64 v[0:1], v[22:23], v[0:1]
	v_add_f64 v[104:105], v[20:21], v[104:105]
	v_fma_f64 v[106:107], s[12:13], v[140:141], v[234:235]
	v_mul_f64 v[114:115], v[114:115], s[20:21]
	v_fmac_f64_e32 v[6:7], s[20:21], v[112:113]
	v_add_f64 v[0:1], v[4:5], v[0:1]
	v_add_f64 v[104:105], v[106:107], v[104:105]
	v_fma_f64 v[106:107], s[0:1], v[150:151], v[114:115]
	v_mul_f64 v[118:119], v[118:119], s[40:41]
	v_add_f64 v[0:1], v[6:7], v[0:1]
	v_fma_f64 v[6:7], v[132:133], s[18:19], -v[236:237]
	v_add_f64 v[104:105], v[106:107], v[104:105]
	v_fma_f64 v[106:107], s[22:23], v[156:157], v[118:119]
	v_mul_f64 v[232:233], v[232:233], s[56:57]
	v_fma_f64 v[4:5], v[140:141], s[12:13], -v[234:235]
	v_add_f64 v[6:7], v[20:21], v[6:7]
	v_add_f64 v[104:105], v[106:107], v[104:105]
	v_fma_f64 v[106:107], s[14:15], v[162:163], v[232:233]
	v_mul_f64 v[238:239], v[250:251], s[24:25]
	v_fmac_f64_e32 v[222:223], s[40:41], v[116:117]
	v_add_f64 v[4:5], v[4:5], v[6:7]
	v_fma_f64 v[6:7], v[150:151], s[0:1], -v[114:115]
	v_add_f64 v[104:105], v[106:107], v[104:105]
	v_fma_f64 v[106:107], s[16:17], v[168:169], v[238:239]
	v_mul_f64 v[126:127], v[126:127], s[42:43]
	v_fmac_f64_e32 v[224:225], s[56:57], v[226:227]
	v_add_f64 v[0:1], v[222:223], v[0:1]
	v_add_f64 v[4:5], v[6:7], v[4:5]
	v_fma_f64 v[6:7], v[156:157], s[22:23], -v[118:119]
	v_add_f64 v[104:105], v[106:107], v[104:105]
	v_fma_f64 v[106:107], s[26:27], v[174:175], v[126:127]
	v_mul_f64 v[240:241], v[200:201], s[6:7]
	v_fmac_f64_e32 v[228:229], s[24:25], v[242:243]
	v_add_f64 v[0:1], v[224:225], v[0:1]
	v_add_f64 v[4:5], v[6:7], v[4:5]
	v_fma_f64 v[6:7], v[162:163], s[14:15], -v[232:233]
	v_add_f64 v[104:105], v[106:107], v[104:105]
	v_fma_f64 v[106:107], s[28:29], v[148:149], v[240:241]
	v_fmac_f64_e32 v[230:231], s[42:43], v[124:125]
	v_add_f64 v[0:1], v[228:229], v[0:1]
	v_add_f64 v[4:5], v[6:7], v[4:5]
	v_fma_f64 v[6:7], v[168:169], s[16:17], -v[238:239]
	v_add_f64 v[106:107], v[106:107], v[2:3]
	v_mul_f64 v[2:3], v[154:155], s[48:49]
	v_fmac_f64_e32 v[240:241], s[48:49], v[148:149]
	v_add_f64 v[0:1], v[230:231], v[0:1]
	v_add_f64 v[4:5], v[6:7], v[4:5]
	v_fma_f64 v[6:7], v[174:175], s[26:27], -v[126:127]
	v_mul_f64 v[112:113], v[144:145], s[22:23]
	v_add_f64 v[4:5], v[6:7], v[4:5]
	v_add_f64 v[110:111], v[240:241], v[0:1]
	v_fma_f64 v[0:1], v[194:195], s[6:7], -v[2:3]
	v_add_f64 v[90:91], v[90:91], v[112:113]
	v_mul_f64 v[112:113], v[134:135], s[12:13]
	v_add_f64 v[108:109], v[0:1], v[4:5]
	v_mul_f64 v[4:5], v[172:173], s[14:15]
	v_add_f64 v[112:113], v[208:209], v[112:113]
	v_add_f64 v[4:5], v[94:95], v[4:5]
	v_mul_f64 v[6:7], v[166:167], s[26:27]
	v_mul_f64 v[94:95], v[152:153], s[16:17]
	v_add_f64 v[112:113], v[22:23], v[112:113]
	v_add_f64 v[6:7], v[92:93], v[6:7]
	v_mul_f64 v[92:93], v[158:159], s[6:7]
	v_add_f64 v[94:95], v[212:213], v[94:95]
	v_add_f64 v[90:91], v[90:91], v[112:113]
	;; [unrolled: 3-line block ×3, first 2 shown]
	v_mul_f64 v[112:113], v[140:141], s[22:23]
	v_add_f64 v[114:115], v[114:115], -v[198:199]
	v_add_f64 v[90:91], v[92:93], v[90:91]
	v_mul_f64 v[92:93], v[162:163], s[26:27]
	v_mul_f64 v[94:95], v[150:151], s[16:17]
	v_add_f64 v[112:113], v[112:113], -v[202:203]
	v_add_f64 v[114:115], v[20:21], v[114:115]
	v_add_f64 v[88:89], v[92:93], -v[88:89]
	v_mul_f64 v[92:93], v[156:157], s[6:7]
	v_add_f64 v[94:95], v[94:95], -v[204:205]
	v_add_f64 v[112:113], v[112:113], v[114:115]
	v_add_f64 v[92:93], v[92:93], -v[206:207]
	v_add_f64 v[94:95], v[94:95], v[112:113]
	v_fma_f64 v[154:155], s[6:7], v[194:195], v[2:3]
	v_mul_f64 v[2:3], v[182:183], s[0:1]
	v_add_f64 v[6:7], v[6:7], v[90:91]
	v_mul_f64 v[90:91], v[168:169], s[14:15]
	v_add_f64 v[92:93], v[92:93], v[94:95]
	v_mul_f64 v[94:95], v[134:135], s[14:15]
	v_add_f64 v[2:3], v[176:177], v[2:3]
	v_add_f64 v[4:5], v[4:5], v[6:7]
	v_mul_f64 v[6:7], v[174:175], s[0:1]
	v_add_f64 v[90:91], v[90:91], -v[210:211]
	v_add_f64 v[88:89], v[88:89], v[92:93]
	v_mul_f64 v[92:93], v[144:145], s[26:27]
	v_add_f64 v[94:95], v[142:143], v[94:95]
	v_mul_f64 v[118:119], v[132:133], s[14:15]
	;; [unrolled: 2-line block ×3, first 2 shown]
	v_add_f64 v[6:7], v[6:7], -v[214:215]
	v_add_f64 v[88:89], v[90:91], v[88:89]
	v_mul_f64 v[90:91], v[152:153], s[12:13]
	v_add_f64 v[92:93], v[160:161], v[92:93]
	v_add_f64 v[94:95], v[22:23], v[94:95]
	v_mul_f64 v[116:117], v[140:141], s[26:27]
	v_add_f64 v[118:119], v[118:119], -v[128:129]
	v_add_f64 v[4:5], v[4:5], -v[218:219]
	v_add_f64 v[6:7], v[6:7], v[88:89]
	v_mul_f64 v[88:89], v[158:159], s[0:1]
	v_add_f64 v[90:91], v[170:171], v[90:91]
	v_add_f64 v[92:93], v[92:93], v[94:95]
	v_mul_f64 v[94:95], v[150:151], s[12:13]
	v_add_f64 v[116:117], v[116:117], -v[130:131]
	v_add_f64 v[118:119], v[20:21], v[118:119]
	v_add_f64 v[112:113], v[4:5], v[6:7]
	v_mul_f64 v[6:7], v[166:167], s[6:7]
	v_add_f64 v[88:89], v[184:185], v[88:89]
	v_add_f64 v[90:91], v[90:91], v[92:93]
	v_mul_f64 v[92:93], v[156:157], s[0:1]
	v_add_f64 v[94:95], v[94:95], -v[136:137]
	v_add_f64 v[116:117], v[116:117], v[118:119]
	v_mul_f64 v[4:5], v[172:173], s[22:23]
	v_add_f64 v[6:7], v[188:189], v[6:7]
	v_add_f64 v[88:89], v[88:89], v[90:91]
	v_mul_f64 v[90:91], v[162:163], s[6:7]
	v_add_f64 v[92:93], v[92:93], -v[138:139]
	v_add_f64 v[94:95], v[94:95], v[116:117]
	v_add_f64 v[4:5], v[190:191], v[4:5]
	;; [unrolled: 1-line block ×3, first 2 shown]
	v_mul_f64 v[88:89], v[168:169], s[22:23]
	v_add_f64 v[90:91], v[90:91], -v[146:147]
	v_add_f64 v[92:93], v[92:93], v[94:95]
	v_add_f64 v[4:5], v[4:5], v[6:7]
	v_mul_f64 v[6:7], v[174:175], s[18:19]
	v_add_f64 v[88:89], v[88:89], -v[164:165]
	v_add_f64 v[90:91], v[90:91], v[92:93]
	v_mov_b32_e32 v223, v9
	v_mov_b32_e32 v222, v8
	v_add_f64 v[6:7], v[6:7], -v[180:181]
	v_add_f64 v[88:89], v[88:89], v[90:91]
	v_accvgpr_read_b32 v8, a88
	v_add_f64 v[6:7], v[6:7], v[88:89]
	v_mul_f64 v[88:89], v[158:159], s[12:13]
	v_accvgpr_read_b32 v9, a89
	v_add_f64 v[88:89], v[8:9], v[88:89]
	v_accvgpr_read_b32 v8, a78
	v_mul_f64 v[90:91], v[152:153], s[26:27]
	v_accvgpr_read_b32 v9, a79
	v_add_f64 v[90:91], v[8:9], v[90:91]
	v_accvgpr_read_b32 v8, a74
	v_mul_f64 v[0:1], v[200:201], s[18:19]
	v_mul_f64 v[92:93], v[144:145], s[18:19]
	v_accvgpr_read_b32 v9, a75
	v_add_f64 v[0:1], v[220:221], v[0:1]
	v_add_f64 v[92:93], v[8:9], v[92:93]
	v_accvgpr_read_b32 v8, a70
	v_add_f64 v[114:115], v[0:1], v[2:3]
	v_mul_f64 v[2:3], v[182:183], s[18:19]
	v_mul_f64 v[94:95], v[134:135], s[6:7]
	v_accvgpr_read_b32 v9, a71
	v_add_f64 v[2:3], v[192:193], v[2:3]
	v_add_f64 v[94:95], v[8:9], v[94:95]
	;; [unrolled: 1-line block ×3, first 2 shown]
	v_mul_f64 v[4:5], v[194:195], s[16:17]
	v_add_f64 v[94:95], v[22:23], v[94:95]
	v_add_f64 v[4:5], v[4:5], -v[186:187]
	v_add_f64 v[92:93], v[92:93], v[94:95]
	v_mul_f64 v[0:1], v[200:201], s[16:17]
	v_add_f64 v[116:117], v[4:5], v[6:7]
	v_mul_f64 v[6:7], v[166:167], s[16:17]
	v_add_f64 v[90:91], v[90:91], v[92:93]
	v_add_f64 v[0:1], v[196:197], v[0:1]
	v_mul_f64 v[4:5], v[172:173], s[0:1]
	v_add_f64 v[6:7], v[252:253], v[6:7]
	v_add_f64 v[88:89], v[88:89], v[90:91]
	;; [unrolled: 1-line block ×3, first 2 shown]
	v_mul_f64 v[2:3], v[182:183], s[14:15]
	v_add_f64 v[4:5], v[254:255], v[4:5]
	v_add_f64 v[6:7], v[6:7], v[88:89]
	;; [unrolled: 1-line block ×4, first 2 shown]
	v_accvgpr_read_b32 v8, a76
	v_add_f64 v[2:3], v[2:3], v[4:5]
	v_mul_f64 v[4:5], v[194:195], s[22:23]
	v_accvgpr_read_b32 v9, a77
	v_add_f64 v[4:5], v[4:5], -v[8:9]
	v_accvgpr_read_b32 v8, a72
	v_mul_f64 v[88:89], v[174:175], s[14:15]
	v_accvgpr_read_b32 v9, a73
	v_add_f64 v[88:89], v[88:89], -v[8:9]
	v_accvgpr_read_b32 v8, a68
	;; [unrolled: 4-line block ×5, first 2 shown]
	v_mul_f64 v[120:121], v[132:133], s[0:1]
	v_mul_f64 v[92:93], v[132:133], s[16:17]
	;; [unrolled: 1-line block ×4, first 2 shown]
	v_accvgpr_read_b32 v9, a63
	v_add_f64 v[132:133], v[132:133], -v[8:9]
	v_accvgpr_read_b32 v8, a60
	v_mul_f64 v[138:139], v[140:141], s[18:19]
	v_accvgpr_read_b32 v9, a61
	v_add_f64 v[138:139], v[138:139], -v[8:9]
	v_accvgpr_read_b32 v8, a112
	v_accvgpr_read_b32 v9, a113
	v_add_f64 v[90:91], v[90:91], -v[8:9]
	v_accvgpr_read_b32 v8, a58
	v_mul_f64 v[164:165], v[182:183], s[6:7]
	v_accvgpr_read_b32 v9, a59
	v_add_f64 v[164:165], v[8:9], v[164:165]
	v_accvgpr_read_b32 v8, a56
	v_mul_f64 v[160:161], v[172:173], s[12:13]
	v_accvgpr_read_b32 v9, a57
	v_add_f64 v[160:161], v[8:9], v[160:161]
	v_accvgpr_read_b32 v8, a52
	v_add_f64 v[104:105], v[154:155], v[104:105]
	v_mul_f64 v[154:155], v[166:167], s[22:23]
	v_accvgpr_read_b32 v9, a53
	v_mul_f64 v[0:1], v[200:201], s[22:23]
	v_add_f64 v[154:155], v[8:9], v[154:155]
	v_accvgpr_read_b32 v8, a48
	v_add_f64 v[0:1], v[122:123], v[0:1]
	v_mul_f64 v[122:123], v[134:135], s[0:1]
	v_mul_f64 v[94:95], v[134:135], s[16:17]
	;; [unrolled: 1-line block ×9, first 2 shown]
	v_accvgpr_read_b32 v9, a49
	v_add_f64 v[150:151], v[8:9], v[150:151]
	v_accvgpr_read_b32 v8, a44
	v_mul_f64 v[146:147], v[152:153], s[18:19]
	v_accvgpr_read_b32 v9, a45
	v_add_f64 v[146:147], v[8:9], v[146:147]
	v_accvgpr_read_b32 v8, a40
	v_accvgpr_read_b32 v9, a41
	v_add_f64 v[90:91], v[20:21], v[90:91]
	v_add_f64 v[136:137], v[8:9], v[136:137]
	v_accvgpr_read_b32 v8, a38
	v_add_f64 v[90:91], v[138:139], v[90:91]
	v_accvgpr_read_b32 v9, a39
	v_add_f64 v[90:91], v[132:133], v[90:91]
	v_add_f64 v[94:95], v[8:9], v[94:95]
	v_accvgpr_read_b32 v8, a50
	v_mul_f64 v[142:143], v[152:153], s[6:7]
	v_add_f64 v[90:91], v[130:131], v[90:91]
	v_mul_f64 v[130:131], v[162:163], s[12:13]
	v_mul_f64 v[152:153], v[162:163], s[22:23]
	;; [unrolled: 1-line block ×3, first 2 shown]
	v_add_f64 v[94:95], v[22:23], v[94:95]
	v_accvgpr_read_b32 v9, a51
	v_add_f64 v[94:95], v[136:137], v[94:95]
	v_add_f64 v[136:137], v[162:163], -v[8:9]
	v_accvgpr_read_b32 v8, a46
	v_mul_f64 v[132:133], v[158:159], s[14:15]
	v_mul_f64 v[158:159], v[168:169], s[12:13]
	v_accvgpr_read_b32 v9, a47
	v_add_f64 v[94:95], v[146:147], v[94:95]
	v_add_f64 v[146:147], v[158:159], -v[8:9]
	v_accvgpr_read_b32 v8, a42
	v_accvgpr_read_b32 v9, a43
	v_add_f64 v[94:95], v[150:151], v[94:95]
	v_add_f64 v[150:151], v[152:153], -v[8:9]
	v_accvgpr_read_b32 v8, a36
	v_mul_f64 v[148:149], v[156:157], s[26:27]
	v_accvgpr_read_b32 v9, a37
	v_add_f64 v[148:149], v[148:149], -v[8:9]
	v_accvgpr_read_b32 v8, a34
	v_accvgpr_read_b32 v9, a35
	v_add_f64 v[90:91], v[128:129], v[90:91]
	v_add_f64 v[144:145], v[144:145], -v[8:9]
	v_accvgpr_read_b32 v8, a32
	v_add_f64 v[90:91], v[126:127], v[90:91]
	v_accvgpr_read_b32 v9, a33
	v_add_f64 v[88:89], v[88:89], v[90:91]
	v_add_f64 v[134:135], v[134:135], -v[8:9]
	v_accvgpr_read_b32 v8, a108
	v_add_f64 v[88:89], v[4:5], v[88:89]
	v_accvgpr_read_b32 v4, a110
	v_accvgpr_read_b32 v9, a109
	v_add_f64 v[90:91], v[0:1], v[2:3]
	v_mul_f64 v[2:3], v[200:201], s[0:1]
	v_accvgpr_read_b32 v5, a111
	v_add_f64 v[92:93], v[92:93], -v[8:9]
	v_accvgpr_read_b32 v8, a28
	v_add_f64 v[2:3], v[4:5], v[2:3]
	v_mul_f64 v[4:5], v[182:183], s[22:23]
	v_accvgpr_read_b32 v9, a29
	v_add_f64 v[4:5], v[8:9], v[4:5]
	v_accvgpr_read_b32 v8, a24
	v_mul_f64 v[138:139], v[156:157], s[14:15]
	v_mul_f64 v[156:157], v[172:173], s[18:19]
	v_add_f64 v[92:93], v[20:21], v[92:93]
	v_accvgpr_read_b32 v9, a25
	v_add_f64 v[92:93], v[134:135], v[92:93]
	v_add_f64 v[134:135], v[8:9], v[156:157]
	v_accvgpr_read_b32 v8, a20
	v_mul_f64 v[128:129], v[166:167], s[12:13]
	v_accvgpr_read_b32 v9, a21
	v_add_f64 v[92:93], v[144:145], v[92:93]
	v_add_f64 v[128:129], v[8:9], v[128:129]
	v_accvgpr_read_b32 v8, a16
	v_add_f64 v[92:93], v[148:149], v[92:93]
	v_accvgpr_read_b32 v9, a17
	v_add_f64 v[92:93], v[150:151], v[92:93]
	v_add_f64 v[132:133], v[8:9], v[132:133]
	v_accvgpr_read_b32 v8, a106
	v_add_f64 v[92:93], v[146:147], v[92:93]
	v_accvgpr_read_b32 v9, a107
	v_add_f64 v[92:93], v[136:137], v[92:93]
	v_add_f64 v[136:137], v[8:9], v[142:143]
	v_accvgpr_read_b32 v8, a102
	v_accvgpr_read_b32 v9, a103
	v_add_f64 v[6:7], v[8:9], v[6:7]
	v_accvgpr_read_b32 v8, a94
	v_add_f64 v[94:95], v[154:155], v[94:95]
	;; [unrolled: 2-line block ×3, first 2 shown]
	v_add_f64 v[122:123], v[8:9], v[122:123]
	v_add_f64 v[94:95], v[164:165], v[94:95]
	;; [unrolled: 1-line block ×4, first 2 shown]
	v_accvgpr_read_b32 v2, a54
	v_add_f64 v[6:7], v[6:7], v[122:123]
	v_mul_f64 v[170:171], v[194:195], s[0:1]
	v_accvgpr_read_b32 v3, a55
	v_add_f64 v[6:7], v[136:137], v[6:7]
	v_add_f64 v[2:3], v[170:171], -v[2:3]
	v_add_f64 v[6:7], v[132:133], v[6:7]
	v_add_f64 v[92:93], v[2:3], v[92:93]
	v_accvgpr_read_b32 v2, a104
	v_add_f64 v[6:7], v[128:129], v[6:7]
	v_mul_f64 v[126:127], v[168:169], s[18:19]
	v_mul_f64 v[168:169], v[200:201], s[26:27]
	v_accvgpr_read_b32 v3, a105
	v_add_f64 v[6:7], v[134:135], v[6:7]
	v_add_f64 v[2:3], v[2:3], v[168:169]
	;; [unrolled: 1-line block ×4, first 2 shown]
	v_accvgpr_read_b32 v4, a26
	v_mul_f64 v[0:1], v[174:175], s[22:23]
	v_accvgpr_read_b32 v5, a27
	v_add_f64 v[0:1], v[0:1], -v[4:5]
	v_accvgpr_read_b32 v4, a22
	v_accvgpr_read_b32 v9, a1
	;; [unrolled: 1-line block ×4, first 2 shown]
	v_add_f64 v[4:5], v[126:127], -v[4:5]
	v_add_f64 v[126:127], v[138:139], -v[8:9]
	v_accvgpr_read_b32 v8, a100
	v_accvgpr_read_b32 v9, a101
	v_add_f64 v[128:129], v[140:141], -v[8:9]
	v_accvgpr_read_b32 v8, a92
	v_accvgpr_read_b32 v9, a93
	;; [unrolled: 3-line block ×3, first 2 shown]
	v_add_f64 v[120:121], v[120:121], -v[8:9]
	v_add_f64 v[120:121], v[20:21], v[120:121]
	v_accvgpr_read_b32 v6, a18
	v_add_f64 v[120:121], v[124:125], v[120:121]
	v_accvgpr_read_b32 v7, a19
	v_add_f64 v[120:121], v[128:129], v[120:121]
	v_add_f64 v[6:7], v[130:131], -v[6:7]
	v_add_f64 v[120:121], v[126:127], v[120:121]
	v_accvgpr_read_b32 v2, a30
	v_add_f64 v[6:7], v[6:7], v[120:121]
	v_mul_f64 v[166:167], v[194:195], s[26:27]
	v_accvgpr_read_b32 v3, a31
	v_add_f64 v[4:5], v[4:5], v[6:7]
	v_add_f64 v[2:3], v[166:167], -v[2:3]
	v_add_f64 v[0:1], v[0:1], v[4:5]
	v_add_f64 v[120:121], v[2:3], v[0:1]
	;; [unrolled: 1-line block ×32, first 2 shown]
	v_accvgpr_write_b32 a83, v15
	v_mov_b64_e32 v[236:237], v[18:19]
	v_add_f64 v[0:1], v[80:81], v[0:1]
	v_accvgpr_write_b32 a82, v14
	v_accvgpr_write_b32 a81, v13
	;; [unrolled: 1-line block ×3, first 2 shown]
	v_mov_b32_e32 v225, v11
	v_mov_b32_e32 v224, v10
	v_accvgpr_read_b32 v231, a87
	v_accvgpr_read_b32 v13, a11
	v_mov_b64_e32 v[234:235], v[16:17]
	v_accvgpr_read_b32 v17, a15
	v_accvgpr_read_b32 v241, a7
	v_add_f64 v[20:21], v[84:85], v[0:1]
	v_mul_lo_u16_e32 v0, 17, v178
	v_accvgpr_read_b32 v230, a86
	v_accvgpr_read_b32 v229, a85
	;; [unrolled: 1-line block ×12, first 2 shown]
	v_add_lshl_u32 v0, v223, v0, 4
	v_add_f64 v[96:97], v[248:249], v[96:97]
	ds_write_b128 v0, v[20:23]
	ds_write_b128 v0, v[120:123] offset:16
	ds_write_b128 v0, v[92:95] offset:32
	ds_write_b128 v0, v[88:91] offset:48
	ds_write_b128 v0, v[116:119] offset:64
	ds_write_b128 v0, v[112:115] offset:80
	ds_write_b128 v0, v[108:111] offset:96
	ds_write_b128 v0, v[100:103] offset:112
	ds_write_b128 v0, a[96:99] offset:128
	ds_write_b128 v0, a[80:83] offset:144
	ds_write_b128 v0, v[96:99] offset:160
	ds_write_b128 v0, v[104:107] offset:176
	ds_write_b128 v0, a[12:15] offset:192
	ds_write_b128 v0, a[8:11] offset:208
	ds_write_b128 v0, a[4:7] offset:224
	ds_write_b128 v0, v[234:237] offset:240
	ds_write_b128 v0, a[84:87] offset:256
.LBB0_7:
	s_or_b64 exec, exec, s[30:31]
	v_mad_u64_u32 v[44:45], s[0:1], v178, 48, s[10:11]
	v_lshl_add_u64 v[60:61], v[178:179], 0, 34
	s_movk_i32 s0, 0xf1
	v_mul_lo_u16_sdwa v0, v60, s0 dst_sel:DWORD dst_unused:UNUSED_PAD src0_sel:BYTE_0 src1_sel:DWORD
	s_load_dwordx4 s[4:7], s[4:5], 0x0
	s_waitcnt lgkmcnt(0)
	s_barrier
	global_load_dwordx4 v[28:31], v[44:45], off
	global_load_dwordx4 v[24:27], v[44:45], off offset:16
	global_load_dwordx4 v[20:23], v[44:45], off offset:32
	v_lshrrev_b16_e32 v0, 12, v0
	v_mul_lo_u16_e32 v0, 17, v0
	v_sub_u16_e32 v0, v60, v0
	v_and_b32_e32 v8, 0xff, v0
	v_mad_u64_u32 v[0:1], s[0:1], v8, 48, s[10:11]
	global_load_dwordx4 v[40:43], v[0:1], off
	global_load_dwordx4 v[150:153], v[0:1], off offset:16
	global_load_dwordx4 v[146:149], v[0:1], off offset:32
	v_add_lshl_u32 v176, v223, v178, 4
	ds_read_b128 v[46:49], v176
	ds_read_b128 v[50:53], v176 offset:272
	ds_read_b128 v[54:57], v176 offset:1632
	;; [unrolled: 1-line block ×11, first 2 shown]
	v_add_lshl_u32 v177, v223, v8, 4
	s_waitcnt lgkmcnt(0)
	s_barrier
	v_lshl_add_u32 v244, v178, 4, v225
	s_waitcnt vmcnt(5)
	v_mul_f64 v[0:1], v[68:69], v[30:31]
	v_mul_f64 v[2:3], v[66:67], v[30:31]
	s_waitcnt vmcnt(4)
	v_mul_f64 v[4:5], v[56:57], v[26:27]
	v_mul_f64 v[6:7], v[54:55], v[26:27]
	;; [unrolled: 3-line block ×3, first 2 shown]
	v_mul_f64 v[104:105], v[64:65], v[26:27]
	v_fma_f64 v[0:1], v[66:67], v[28:29], -v[0:1]
	v_fmac_f64_e32 v[2:3], v[68:69], v[28:29]
	v_fma_f64 v[4:5], v[54:55], v[24:25], -v[4:5]
	v_fmac_f64_e32 v[6:7], v[56:57], v[24:25]
	;; [unrolled: 2-line block ×3, first 2 shown]
	v_mul_f64 v[106:107], v[62:63], v[26:27]
	v_fma_f64 v[56:57], v[62:63], v[24:25], -v[104:105]
	v_add_f64 v[6:7], v[48:49], -v[6:7]
	v_add_f64 v[54:55], v[0:1], -v[54:55]
	;; [unrolled: 1-line block ×3, first 2 shown]
	v_mul_f64 v[100:101], v[76:77], v[30:31]
	v_mul_f64 v[102:103], v[74:75], v[30:31]
	;; [unrolled: 1-line block ×4, first 2 shown]
	v_add_f64 v[4:5], v[46:47], -v[4:5]
	v_fma_f64 v[68:69], v[48:49], 2.0, -v[6:7]
	v_fma_f64 v[2:3], v[2:3], 2.0, -v[62:63]
	v_add_f64 v[48:49], v[6:7], v[54:55]
	v_fma_f64 v[58:59], v[74:75], v[28:29], -v[100:101]
	v_fmac_f64_e32 v[102:103], v[76:77], v[28:29]
	v_fmac_f64_e32 v[106:107], v[64:65], v[24:25]
	v_fma_f64 v[74:75], v[90:91], v[20:21], -v[108:109]
	v_fmac_f64_e32 v[110:111], v[92:93], v[20:21]
	v_add_f64 v[82:83], v[50:51], -v[56:57]
	v_fma_f64 v[66:67], v[46:47], 2.0, -v[4:5]
	v_fma_f64 v[0:1], v[0:1], 2.0, -v[54:55]
	v_add_f64 v[46:47], v[4:5], -v[62:63]
	v_add_f64 v[56:57], v[68:69], -v[2:3]
	v_fma_f64 v[64:65], v[6:7], 2.0, -v[48:49]
	s_waitcnt vmcnt(2)
	v_mul_f64 v[2:3], v[78:79], v[42:43]
	s_waitcnt vmcnt(1)
	v_mul_f64 v[6:7], v[86:87], v[152:153]
	v_add_f64 v[84:85], v[52:53], -v[106:107]
	v_fma_f64 v[76:77], v[50:51], 2.0, -v[82:83]
	v_add_f64 v[54:55], v[66:67], -v[0:1]
	v_fma_f64 v[62:63], v[4:5], 2.0, -v[46:47]
	v_mul_f64 v[0:1], v[80:81], v[42:43]
	v_mul_f64 v[4:5], v[88:89], v[152:153]
	s_waitcnt vmcnt(0)
	v_mul_f64 v[50:51], v[96:97], v[148:149]
	v_mul_f64 v[90:91], v[94:95], v[148:149]
	v_fmac_f64_e32 v[2:3], v[80:81], v[40:41]
	v_fmac_f64_e32 v[6:7], v[88:89], v[150:151]
	v_add_f64 v[80:81], v[58:59], -v[74:75]
	v_add_f64 v[88:89], v[102:103], -v[110:111]
	v_fma_f64 v[0:1], v[78:79], v[40:41], -v[0:1]
	v_fma_f64 v[4:5], v[86:87], v[150:151], -v[4:5]
	;; [unrolled: 1-line block ×3, first 2 shown]
	v_fmac_f64_e32 v[90:91], v[96:97], v[146:147]
	v_fma_f64 v[78:79], v[52:53], 2.0, -v[84:85]
	v_fma_f64 v[50:51], v[58:59], 2.0, -v[80:81]
	;; [unrolled: 1-line block ×3, first 2 shown]
	v_add_f64 v[50:51], v[76:77], -v[50:51]
	v_add_f64 v[52:53], v[78:79], -v[52:53]
	;; [unrolled: 1-line block ×6, first 2 shown]
	v_fma_f64 v[74:75], v[76:77], 2.0, -v[50:51]
	v_fma_f64 v[76:77], v[78:79], 2.0, -v[52:53]
	v_add_f64 v[78:79], v[82:83], -v[88:89]
	v_fma_f64 v[58:59], v[70:71], 2.0, -v[4:5]
	v_fma_f64 v[88:89], v[72:73], 2.0, -v[6:7]
	;; [unrolled: 1-line block ×4, first 2 shown]
	v_add_f64 v[70:71], v[58:59], -v[0:1]
	v_add_f64 v[72:73], v[88:89], -v[2:3]
	v_sub_co_u32_e64 v0, s[0:1], v44, v222
	v_fma_f64 v[66:67], v[66:67], 2.0, -v[54:55]
	v_fma_f64 v[68:69], v[68:69], 2.0, -v[56:57]
	v_add_f64 v[80:81], v[84:85], v[80:81]
	v_fma_f64 v[86:87], v[58:59], 2.0, -v[70:71]
	v_fma_f64 v[88:89], v[88:89], 2.0, -v[72:73]
	v_add_f64 v[90:91], v[4:5], -v[90:91]
	v_add_f64 v[92:93], v[6:7], v[92:93]
	v_subbrev_co_u32_e64 v1, s[0:1], 0, v45, s[0:1]
	v_fma_f64 v[82:83], v[82:83], 2.0, -v[78:79]
	v_fma_f64 v[84:85], v[84:85], 2.0, -v[80:81]
	;; [unrolled: 1-line block ×4, first 2 shown]
	ds_write_b128 v176, v[66:69]
	ds_write_b128 v176, v[62:65] offset:272
	ds_write_b128 v176, v[54:57] offset:544
	;; [unrolled: 1-line block ×11, first 2 shown]
	s_waitcnt lgkmcnt(0)
	s_barrier
	global_load_dwordx4 v[48:51], v[0:1], off offset:816
	global_load_dwordx4 v[44:47], v[0:1], off offset:832
	v_lshlrev_b32_e32 v0, 5, v178
	v_add_u32_e32 v1, 0x220, v0
	global_load_dwordx4 v[56:59], v1, s[10:11] offset:816
	global_load_dwordx4 v[52:55], v1, s[10:11] offset:832
	v_lshlrev_b32_e32 v1, 5, v60
	global_load_dwordx4 v[64:67], v1, s[10:11] offset:816
	global_load_dwordx4 v[60:63], v1, s[10:11] offset:832
	v_add_u32_e32 v0, 0x660, v0
	global_load_dwordx4 v[72:75], v0, s[10:11] offset:816
	global_load_dwordx4 v[68:71], v0, s[10:11] offset:832
	ds_read_b128 v[76:79], v176
	ds_read_b128 v[80:83], v176 offset:272
	ds_read_b128 v[84:87], v176 offset:1088
	;; [unrolled: 1-line block ×11, first 2 shown]
	s_mov_b32 s0, 0xe8584caa
	s_mov_b32 s1, 0x3febb67a
	;; [unrolled: 1-line block ×4, first 2 shown]
	s_waitcnt vmcnt(7) lgkmcnt(9)
	v_mul_f64 v[0:1], v[86:87], v[50:51]
	v_mul_f64 v[2:3], v[84:85], v[50:51]
	v_fma_f64 v[0:1], v[84:85], v[48:49], -v[0:1]
	s_waitcnt vmcnt(6) lgkmcnt(7)
	v_mul_f64 v[4:5], v[102:103], v[46:47]
	s_waitcnt vmcnt(4) lgkmcnt(6)
	v_mul_f64 v[84:85], v[106:107], v[54:55]
	v_fma_f64 v[128:129], v[104:105], v[52:53], -v[84:85]
	s_waitcnt vmcnt(3) lgkmcnt(3)
	v_mul_f64 v[84:85], v[110:111], v[66:67]
	v_fma_f64 v[132:133], v[108:109], v[64:65], -v[84:85]
	s_waitcnt vmcnt(2) lgkmcnt(1)
	v_mul_f64 v[84:85], v[118:119], v[62:63]
	v_mul_f64 v[6:7], v[100:101], v[46:47]
	v_fma_f64 v[4:5], v[100:101], v[44:45], -v[4:5]
	v_fma_f64 v[136:137], v[116:117], v[60:61], -v[84:85]
	s_waitcnt vmcnt(1)
	v_mul_f64 v[84:85], v[114:115], v[74:75]
	v_fmac_f64_e32 v[2:3], v[86:87], v[48:49]
	v_fmac_f64_e32 v[6:7], v[102:103], v[44:45]
	v_fma_f64 v[138:139], v[112:113], v[72:73], -v[84:85]
	s_waitcnt vmcnt(0) lgkmcnt(0)
	v_mul_f64 v[84:85], v[122:123], v[70:71]
	v_add_f64 v[86:87], v[0:1], v[4:5]
	v_mul_f64 v[124:125], v[90:91], v[58:59]
	v_fma_f64 v[142:143], v[120:121], v[68:69], -v[84:85]
	v_add_f64 v[84:85], v[76:77], v[0:1]
	v_fmac_f64_e32 v[76:77], -0.5, v[86:87]
	v_add_f64 v[86:87], v[2:3], -v[6:7]
	v_fma_f64 v[124:125], v[88:89], v[56:57], -v[124:125]
	v_mul_f64 v[126:127], v[88:89], v[58:59]
	v_fma_f64 v[88:89], s[0:1], v[86:87], v[76:77]
	v_fmac_f64_e32 v[76:77], s[10:11], v[86:87]
	v_add_f64 v[86:87], v[78:79], v[2:3]
	v_add_f64 v[2:3], v[2:3], v[6:7]
	v_fmac_f64_e32 v[78:79], -0.5, v[2:3]
	v_add_f64 v[0:1], v[0:1], -v[4:5]
	v_fmac_f64_e32 v[126:127], v[90:91], v[56:57]
	v_mul_f64 v[130:131], v[104:105], v[54:55]
	v_fma_f64 v[90:91], s[10:11], v[0:1], v[78:79]
	v_fmac_f64_e32 v[78:79], s[0:1], v[0:1]
	v_add_f64 v[0:1], v[80:81], v[124:125]
	v_fmac_f64_e32 v[130:131], v[106:107], v[52:53]
	v_add_f64 v[100:101], v[0:1], v[128:129]
	v_add_f64 v[0:1], v[124:125], v[128:129]
	v_fmac_f64_e32 v[80:81], -0.5, v[0:1]
	v_add_f64 v[0:1], v[126:127], -v[130:131]
	v_fma_f64 v[104:105], s[0:1], v[0:1], v[80:81]
	v_fmac_f64_e32 v[80:81], s[10:11], v[0:1]
	v_add_f64 v[0:1], v[82:83], v[126:127]
	v_add_f64 v[102:103], v[0:1], v[130:131]
	;; [unrolled: 1-line block ×3, first 2 shown]
	v_fmac_f64_e32 v[82:83], -0.5, v[0:1]
	v_add_f64 v[0:1], v[124:125], -v[128:129]
	v_mul_f64 v[134:135], v[108:109], v[66:67]
	v_mul_f64 v[116:117], v[116:117], v[62:63]
	v_fma_f64 v[106:107], s[10:11], v[0:1], v[82:83]
	v_fmac_f64_e32 v[82:83], s[0:1], v[0:1]
	v_add_f64 v[0:1], v[92:93], v[132:133]
	v_fmac_f64_e32 v[134:135], v[110:111], v[64:65]
	v_fmac_f64_e32 v[116:117], v[118:119], v[60:61]
	v_add_f64 v[108:109], v[0:1], v[136:137]
	v_add_f64 v[0:1], v[132:133], v[136:137]
	v_fmac_f64_e32 v[92:93], -0.5, v[0:1]
	v_add_f64 v[0:1], v[134:135], -v[116:117]
	v_mul_f64 v[140:141], v[112:113], v[74:75]
	v_fma_f64 v[112:113], s[0:1], v[0:1], v[92:93]
	v_fmac_f64_e32 v[92:93], s[10:11], v[0:1]
	v_add_f64 v[0:1], v[94:95], v[134:135]
	v_add_f64 v[110:111], v[0:1], v[116:117]
	;; [unrolled: 1-line block ×3, first 2 shown]
	v_fmac_f64_e32 v[94:95], -0.5, v[0:1]
	v_add_f64 v[0:1], v[132:133], -v[136:137]
	v_fmac_f64_e32 v[140:141], v[114:115], v[72:73]
	v_mul_f64 v[144:145], v[120:121], v[70:71]
	v_fma_f64 v[114:115], s[10:11], v[0:1], v[94:95]
	v_fmac_f64_e32 v[94:95], s[0:1], v[0:1]
	v_add_f64 v[0:1], v[96:97], v[138:139]
	v_fmac_f64_e32 v[144:145], v[122:123], v[68:69]
	v_add_f64 v[116:117], v[0:1], v[142:143]
	v_add_f64 v[0:1], v[138:139], v[142:143]
	v_fmac_f64_e32 v[96:97], -0.5, v[0:1]
	v_add_f64 v[0:1], v[140:141], -v[144:145]
	v_fma_f64 v[120:121], s[0:1], v[0:1], v[96:97]
	v_fmac_f64_e32 v[96:97], s[10:11], v[0:1]
	v_add_f64 v[0:1], v[98:99], v[140:141]
	v_add_f64 v[118:119], v[0:1], v[144:145]
	;; [unrolled: 1-line block ×3, first 2 shown]
	v_fmac_f64_e32 v[98:99], -0.5, v[0:1]
	v_add_f64 v[0:1], v[138:139], -v[142:143]
	v_add_f64 v[84:85], v[84:85], v[4:5]
	v_add_f64 v[86:87], v[86:87], v[6:7]
	v_fma_f64 v[122:123], s[10:11], v[0:1], v[98:99]
	v_fmac_f64_e32 v[98:99], s[0:1], v[0:1]
	v_add_u32_e32 v132, v222, v225
	ds_write_b128 v244, v[84:87]
	ds_write_b128 v244, v[88:91] offset:1088
	ds_write_b128 v244, v[76:79] offset:2176
	;; [unrolled: 1-line block ×11, first 2 shown]
	s_waitcnt lgkmcnt(0)
	s_barrier
	s_and_saveexec_b64 s[0:1], vcc
	s_cbranch_execz .LBB0_9
; %bb.8:
	global_load_dwordx4 v[128:131], v222, s[2:3] offset:3264
	ds_read_b128 v[124:127], v244
	s_add_u32 s10, s2, 0xcc0
	s_addc_u32 s11, s3, 0
	s_waitcnt vmcnt(0) lgkmcnt(0)
	v_mul_f64 v[0:1], v[126:127], v[130:131]
	v_mul_f64 v[136:137], v[124:125], v[130:131]
	v_fma_f64 v[134:135], v[124:125], v[128:129], -v[0:1]
	v_fmac_f64_e32 v[136:137], v[126:127], v[128:129]
	global_load_dwordx4 v[128:131], v222, s[10:11] offset:192
	ds_read_b128 v[124:127], v244 offset:192
	ds_write_b128 v244, v[134:137]
	s_waitcnt vmcnt(0) lgkmcnt(1)
	v_mul_f64 v[0:1], v[126:127], v[130:131]
	v_mul_f64 v[136:137], v[124:125], v[130:131]
	v_fma_f64 v[134:135], v[124:125], v[128:129], -v[0:1]
	v_fmac_f64_e32 v[136:137], v[126:127], v[128:129]
	global_load_dwordx4 v[128:131], v222, s[10:11] offset:384
	ds_read_b128 v[124:127], v244 offset:384
	ds_write_b128 v244, v[134:137] offset:192
	s_waitcnt vmcnt(0) lgkmcnt(1)
	v_mul_f64 v[0:1], v[126:127], v[130:131]
	v_mul_f64 v[136:137], v[124:125], v[130:131]
	v_fma_f64 v[134:135], v[124:125], v[128:129], -v[0:1]
	v_fmac_f64_e32 v[136:137], v[126:127], v[128:129]
	global_load_dwordx4 v[128:131], v222, s[10:11] offset:576
	ds_read_b128 v[124:127], v244 offset:576
	ds_write_b128 v244, v[134:137] offset:384
	;; [unrolled: 8-line block ×15, first 2 shown]
	s_waitcnt vmcnt(0) lgkmcnt(1)
	v_mul_f64 v[0:1], v[126:127], v[130:131]
	v_mul_f64 v[136:137], v[124:125], v[130:131]
	v_fma_f64 v[134:135], v[124:125], v[128:129], -v[0:1]
	v_fmac_f64_e32 v[136:137], v[126:127], v[128:129]
	ds_write_b128 v244, v[134:137] offset:3072
.LBB0_9:
	s_or_b64 exec, exec, s[0:1]
	s_waitcnt lgkmcnt(0)
	s_barrier
	s_and_saveexec_b64 s[0:1], vcc
	s_cbranch_execz .LBB0_11
; %bb.10:
	ds_read_b128 v[84:87], v244
	ds_read_b128 v[88:91], v244 offset:192
	ds_read_b128 v[76:79], v244 offset:384
	;; [unrolled: 1-line block ×16, first 2 shown]
.LBB0_11:
	s_or_b64 exec, exec, s[0:1]
	v_add_u32_e32 v125, 0x220, v132
	v_add_u32_e32 v124, 0x330, v132
	s_waitcnt lgkmcnt(0)
	s_barrier
	s_and_saveexec_b64 s[0:1], vcc
	s_cbranch_execz .LBB0_13
; %bb.12:
	s_mov_b32 s34, 0xacd6c6b4
	v_accvgpr_write_b32 a14, v40
	s_mov_b32 s38, 0x5d8e7cdc
	v_add_f64 v[226:227], v[88:89], -v[228:229]
	s_mov_b32 s35, 0xbfc7851a
	s_mov_b32 s28, 0x7faef3
	v_accvgpr_write_b32 a15, v41
	v_accvgpr_write_b32 a16, v42
	v_accvgpr_write_b32 a17, v43
	v_mov_b64_e32 v[40:41], v[228:229]
	v_accvgpr_write_b32 a18, v44
	s_mov_b32 s30, 0x4363dd80
	v_accvgpr_write_b32 a4, v224
	v_mov_b32_e32 v245, v225
	v_add_f64 v[224:225], v[76:77], -v[234:235]
	s_mov_b32 s39, 0x3fd71e95
	s_mov_b32 s24, 0x370991
	v_mul_f64 v[144:145], v[226:227], s[34:35]
	v_add_f64 v[202:203], v[230:231], v[90:91]
	s_mov_b32 s29, 0xbfef7484
	v_accvgpr_write_b32 a6, v146
	v_mov_b64_e32 v[42:43], v[230:231]
	v_accvgpr_write_b32 a19, v45
	v_accvgpr_write_b32 a20, v46
	;; [unrolled: 1-line block ×3, first 2 shown]
	v_mov_b64_e32 v[44:45], v[234:235]
	s_mov_b32 s44, 0x2a9d6da3
	v_add_f64 v[216:217], v[100:101], -v[238:239]
	s_mov_b32 s31, 0xbfe0d888
	v_mul_f64 v[140:141], v[224:225], s[38:39]
	v_add_f64 v[198:199], v[236:237], v[78:79]
	s_mov_b32 s25, 0x3fedd6d0
	v_accvgpr_write_b32 a7, v147
	v_accvgpr_write_b32 a8, v148
	;; [unrolled: 1-line block ×3, first 2 shown]
	v_fma_f64 v[146:147], s[28:29], v[202:203], v[144:145]
	v_mov_b64_e32 v[46:47], v[236:237]
	v_mov_b64_e32 v[32:33], v[238:239]
	v_add_f64 v[242:243], v[90:91], -v[42:43]
	s_mov_b32 s26, 0x6c9a05f6
	v_add_f64 v[204:205], v[104:105], -v[10:11]
	s_mov_b32 s45, 0x3fe58eea
	s_mov_b32 s18, 0x75d4884
	v_mul_f64 v[136:137], v[216:217], s[30:31]
	v_add_f64 v[194:195], v[102:103], v[240:241]
	v_fma_f64 v[142:143], s[24:25], v[198:199], v[140:141]
	v_add_f64 v[146:147], v[86:87], v[146:147]
	v_mov_b64_e32 v[34:35], v[240:241]
	v_add_f64 v[240:241], v[78:79], -v[46:47]
	v_accvgpr_write_b32 a1, v222
	v_accvgpr_write_b32 a3, v223
	v_add_f64 v[222:223], v[40:41], v[88:89]
	v_mul_f64 v[162:163], v[242:243], s[34:35]
	s_mov_b32 s36, 0x7c9e640b
	v_add_f64 v[200:201], v[80:81], -v[14:15]
	s_mov_b32 s27, 0xbfe9895b
	s_mov_b32 s16, 0x6ed5f1bb
	v_mul_f64 v[132:133], v[204:205], s[44:45]
	v_add_f64 v[190:191], v[106:107], v[12:13]
	s_mov_b32 s19, 0x3fe7a5f6
	v_fma_f64 v[138:139], s[22:23], v[194:195], v[136:137]
	v_add_f64 v[142:143], v[142:143], v[146:147]
	v_add_f64 v[218:219], v[100:101], v[238:239]
	v_add_f64 v[238:239], v[102:103], -v[34:35]
	v_add_f64 v[220:221], v[44:45], v[76:77]
	v_mul_f64 v[158:159], v[240:241], s[38:39]
	v_fma_f64 v[164:165], v[222:223], s[28:29], -v[162:163]
	s_mov_b32 s20, 0x923c349f
	v_add_f64 v[196:197], v[108:109], -v[96:97]
	s_mov_b32 s37, 0x3feca52d
	s_mov_b32 s14, 0x2b2883cd
	v_mul_f64 v[130:131], v[200:201], s[26:27]
	v_add_f64 v[186:187], v[16:17], v[82:83]
	s_mov_b32 s17, 0xbfe348c8
	v_fma_f64 v[134:135], s[18:19], v[190:191], v[132:133]
	v_add_f64 v[138:139], v[138:139], v[142:143]
	v_add_f64 v[236:237], v[106:107], -v[12:13]
	v_accvgpr_write_b32 a10, v150
	v_mul_f64 v[154:155], v[238:239], s[30:31]
	v_fma_f64 v[160:161], v[220:221], s[24:25], -v[158:159]
	v_add_f64 v[164:165], v[84:85], v[164:165]
	s_mov_b32 s48, 0xeb564b22
	v_add_f64 v[192:193], v[112:113], -v[120:121]
	s_mov_b32 s21, 0xbfeec746
	v_mul_f64 v[128:129], v[196:197], s[36:37]
	v_add_f64 v[184:185], v[98:99], v[110:111]
	s_mov_b32 s15, 0x3fdc86fa
	v_fma_f64 v[126:127], s[16:17], v[186:187], v[130:131]
	v_add_f64 v[134:135], v[134:135], v[138:139]
	v_add_f64 v[234:235], v[82:83], -v[16:17]
	v_add_f64 v[214:215], v[104:105], v[10:11]
	v_accvgpr_write_b32 a11, v151
	v_accvgpr_write_b32 a12, v152
	;; [unrolled: 1-line block ×3, first 2 shown]
	v_mul_f64 v[150:151], v[236:237], s[44:45]
	v_fma_f64 v[156:157], v[218:219], s[22:23], -v[154:155]
	v_add_f64 v[160:161], v[160:161], v[164:165]
	v_add_f64 v[188:189], v[92:93], -v[116:117]
	s_mov_b32 s49, 0x3fefdd0d
	s_mov_b32 s10, 0x3259b75e
	v_mul_f64 v[4:5], v[192:193], s[20:21]
	v_add_f64 v[182:183], v[114:115], v[122:123]
	v_accvgpr_write_b32 a5, v124
	v_accvgpr_write_b32 a30, v125
	v_fma_f64 v[124:125], s[14:15], v[184:185], v[128:129]
	v_add_f64 v[126:127], v[126:127], v[134:135]
	v_add_f64 v[232:233], v[110:111], -v[98:99]
	v_add_f64 v[212:213], v[14:15], v[80:81]
	v_mul_f64 v[146:147], v[234:235], s[26:27]
	v_fma_f64 v[152:153], v[214:215], s[18:19], -v[150:151]
	v_add_f64 v[156:157], v[156:157], v[160:161]
	v_mul_f64 v[0:1], v[188:189], s[48:49]
	v_add_f64 v[180:181], v[94:95], v[118:119]
	s_mov_b32 s11, 0x3fb79ee6
	v_fma_f64 v[6:7], s[12:13], v[182:183], v[4:5]
	v_add_f64 v[124:125], v[124:125], v[126:127]
	v_add_f64 v[230:231], v[114:115], -v[122:123]
	v_add_f64 v[210:211], v[96:97], v[108:109]
	v_mul_f64 v[138:139], v[232:233], s[36:37]
	v_fma_f64 v[148:149], v[212:213], s[16:17], -v[146:147]
	v_add_f64 v[152:153], v[152:153], v[156:157]
	v_fma_f64 v[2:3], s[10:11], v[180:181], v[0:1]
	v_add_f64 v[6:7], v[6:7], v[124:125]
	v_add_f64 v[228:229], v[94:95], -v[118:119]
	v_add_f64 v[208:209], v[112:113], v[120:121]
	v_mul_f64 v[134:135], v[230:231], s[20:21]
	v_fma_f64 v[142:143], v[210:211], s[14:15], -v[138:139]
	v_add_f64 v[148:149], v[148:149], v[152:153]
	v_add_f64 v[8:9], v[2:3], v[6:7]
	;; [unrolled: 1-line block ×3, first 2 shown]
	v_mul_f64 v[2:3], v[228:229], s[48:49]
	v_fma_f64 v[124:125], v[208:209], s[12:13], -v[134:135]
	v_add_f64 v[142:143], v[142:143], v[148:149]
	v_fma_f64 v[6:7], v[206:207], s[10:11], -v[2:3]
	v_add_f64 v[124:125], v[124:125], v[142:143]
	v_add_f64 v[6:7], v[6:7], v[124:125]
	v_accvgpr_write_b32 a35, v9
	v_accvgpr_write_b32 a34, v8
	;; [unrolled: 1-line block ×4, first 2 shown]
	v_fma_f64 v[6:7], v[184:185], s[14:15], -v[128:129]
	v_fma_f64 v[128:129], v[186:187], s[16:17], -v[130:131]
	;; [unrolled: 1-line block ×6, first 2 shown]
	v_add_f64 v[140:141], v[86:87], v[140:141]
	v_add_f64 v[136:137], v[136:137], v[140:141]
	;; [unrolled: 1-line block ×5, first 2 shown]
	v_fma_f64 v[4:5], v[182:183], s[12:13], -v[4:5]
	v_add_f64 v[6:7], v[6:7], v[128:129]
	v_fma_f64 v[0:1], v[180:181], s[10:11], -v[0:1]
	v_add_f64 v[4:5], v[4:5], v[6:7]
	v_fmac_f64_e32 v[162:163], s[28:29], v[222:223]
	v_add_f64 v[4:5], v[0:1], v[4:5]
	v_fmac_f64_e32 v[158:159], s[24:25], v[220:221]
	;; [unrolled: 2-line block ×4, first 2 shown]
	v_add_f64 v[0:1], v[154:155], v[0:1]
	v_mul_f64 v[152:153], v[226:227], s[30:31]
	v_fmac_f64_e32 v[146:147], s[16:17], v[212:213]
	v_add_f64 v[0:1], v[150:151], v[0:1]
	s_mov_b32 s43, 0xbfefdd0d
	s_mov_b32 s42, s48
	v_mul_f64 v[148:149], v[224:225], s[36:37]
	v_fma_f64 v[154:155], s[22:23], v[202:203], v[152:153]
	v_fmac_f64_e32 v[138:139], s[14:15], v[210:211]
	v_add_f64 v[0:1], v[146:147], v[0:1]
	s_mov_b32 s55, 0x3fe9895b
	s_mov_b32 s54, s26
	v_mul_f64 v[144:145], v[216:217], s[42:43]
	v_fma_f64 v[150:151], s[14:15], v[198:199], v[148:149]
	v_add_f64 v[154:155], v[86:87], v[154:155]
	v_mul_f64 v[170:171], v[242:243], s[30:31]
	v_fmac_f64_e32 v[134:135], s[12:13], v[208:209]
	v_add_f64 v[0:1], v[138:139], v[0:1]
	s_mov_b32 s41, 0xbfd71e95
	s_mov_b32 s40, s38
	v_mul_f64 v[140:141], v[204:205], s[54:55]
	v_fma_f64 v[146:147], s[10:11], v[194:195], v[144:145]
	v_add_f64 v[150:151], v[150:151], v[154:155]
	v_mul_f64 v[166:167], v[240:241], s[36:37]
	v_fma_f64 v[172:173], v[222:223], s[22:23], -v[170:171]
	v_fmac_f64_e32 v[2:3], s[10:11], v[206:207]
	v_add_f64 v[0:1], v[134:135], v[0:1]
	v_mul_f64 v[138:139], v[200:201], s[40:41]
	v_fma_f64 v[142:143], s[16:17], v[190:191], v[140:141]
	v_add_f64 v[146:147], v[146:147], v[150:151]
	v_mul_f64 v[162:163], v[238:239], s[42:43]
	v_fma_f64 v[168:169], v[220:221], s[14:15], -v[166:167]
	v_add_f64 v[172:173], v[84:85], v[172:173]
	v_add_f64 v[2:3], v[2:3], v[0:1]
	v_accvgpr_write_b32 a39, v5
	v_mul_f64 v[136:137], v[196:197], s[34:35]
	v_fma_f64 v[134:135], s[24:25], v[186:187], v[138:139]
	v_add_f64 v[142:143], v[142:143], v[146:147]
	v_mul_f64 v[158:159], v[236:237], s[54:55]
	v_fma_f64 v[164:165], v[218:219], s[10:11], -v[162:163]
	v_add_f64 v[168:169], v[168:169], v[172:173]
	v_accvgpr_write_b32 a38, v4
	v_accvgpr_write_b32 a37, v3
	;; [unrolled: 1-line block ×3, first 2 shown]
	v_mul_f64 v[4:5], v[192:193], s[44:45]
	v_fma_f64 v[132:133], s[28:29], v[184:185], v[136:137]
	v_add_f64 v[134:135], v[134:135], v[142:143]
	v_mul_f64 v[154:155], v[234:235], s[40:41]
	v_fma_f64 v[160:161], v[214:215], s[16:17], -v[158:159]
	v_add_f64 v[164:165], v[164:165], v[168:169]
	v_mul_f64 v[0:1], v[188:189], s[20:21]
	v_fma_f64 v[6:7], s[18:19], v[182:183], v[4:5]
	v_add_f64 v[132:133], v[132:133], v[134:135]
	v_mul_f64 v[146:147], v[232:233], s[34:35]
	v_fma_f64 v[156:157], v[212:213], s[24:25], -v[154:155]
	v_add_f64 v[160:161], v[160:161], v[164:165]
	v_fma_f64 v[2:3], s[12:13], v[180:181], v[0:1]
	v_add_f64 v[6:7], v[6:7], v[132:133]
	v_mul_f64 v[142:143], v[230:231], s[44:45]
	v_fma_f64 v[150:151], v[210:211], s[28:29], -v[146:147]
	v_add_f64 v[156:157], v[156:157], v[160:161]
	v_add_f64 v[134:135], v[2:3], v[6:7]
	v_mul_f64 v[2:3], v[228:229], s[20:21]
	v_fma_f64 v[132:133], v[208:209], s[18:19], -v[142:143]
	v_add_f64 v[150:151], v[150:151], v[156:157]
	v_fma_f64 v[6:7], v[206:207], s[12:13], -v[2:3]
	v_add_f64 v[132:133], v[132:133], v[150:151]
	v_add_f64 v[132:133], v[6:7], v[132:133]
	v_fma_f64 v[6:7], v[184:185], s[28:29], -v[136:137]
	v_fma_f64 v[136:137], v[186:187], s[24:25], -v[138:139]
	;; [unrolled: 1-line block ×6, first 2 shown]
	v_add_f64 v[148:149], v[86:87], v[148:149]
	v_add_f64 v[144:145], v[144:145], v[148:149]
	;; [unrolled: 1-line block ×5, first 2 shown]
	v_fma_f64 v[4:5], v[182:183], s[18:19], -v[4:5]
	v_add_f64 v[6:7], v[6:7], v[136:137]
	v_fma_f64 v[0:1], v[180:181], s[12:13], -v[0:1]
	v_add_f64 v[4:5], v[4:5], v[6:7]
	v_fmac_f64_e32 v[170:171], s[22:23], v[222:223]
	v_add_f64 v[138:139], v[0:1], v[4:5]
	v_fmac_f64_e32 v[166:167], s[14:15], v[220:221]
	;; [unrolled: 2-line block ×3, first 2 shown]
	v_add_f64 v[0:1], v[166:167], v[0:1]
	s_mov_b32 s53, 0x3feec746
	s_mov_b32 s52, s20
	v_mul_f64 v[160:161], v[226:227], s[26:27]
	v_fmac_f64_e32 v[158:159], s[16:17], v[214:215]
	v_add_f64 v[0:1], v[162:163], v[0:1]
	v_mul_f64 v[156:157], v[224:225], s[52:53]
	v_fma_f64 v[162:163], s[16:17], v[202:203], v[160:161]
	v_fmac_f64_e32 v[154:155], s[24:25], v[212:213]
	v_add_f64 v[0:1], v[158:159], v[0:1]
	v_mul_f64 v[152:153], v[216:217], s[40:41]
	v_fma_f64 v[158:159], s[12:13], v[198:199], v[156:157]
	v_add_f64 v[162:163], v[86:87], v[162:163]
	v_mul_f64 v[250:251], v[242:243], s[26:27]
	v_fmac_f64_e32 v[146:147], s[28:29], v[210:211]
	v_add_f64 v[0:1], v[154:155], v[0:1]
	v_mul_f64 v[148:149], v[204:205], s[30:31]
	v_fma_f64 v[154:155], s[24:25], v[194:195], v[152:153]
	v_add_f64 v[158:159], v[158:159], v[162:163]
	v_mul_f64 v[174:175], v[240:241], s[52:53]
	v_fma_f64 v[252:253], v[222:223], s[16:17], -v[250:251]
	v_fmac_f64_e32 v[142:143], s[18:19], v[208:209]
	v_add_f64 v[0:1], v[146:147], v[0:1]
	s_mov_b32 s47, 0xbfe58eea
	s_mov_b32 s46, s44
	v_mul_f64 v[146:147], v[200:201], s[48:49]
	v_fma_f64 v[150:151], s[22:23], v[190:191], v[148:149]
	v_add_f64 v[154:155], v[154:155], v[158:159]
	v_mul_f64 v[170:171], v[238:239], s[40:41]
	v_fma_f64 v[248:249], v[220:221], s[12:13], -v[174:175]
	v_add_f64 v[252:253], v[84:85], v[252:253]
	v_add_f64 v[0:1], v[142:143], v[0:1]
	v_mul_f64 v[144:145], v[196:197], s[46:47]
	v_fma_f64 v[142:143], s[10:11], v[186:187], v[146:147]
	v_add_f64 v[150:151], v[150:151], v[154:155]
	v_mul_f64 v[166:167], v[236:237], s[30:31]
	v_fma_f64 v[172:173], v[218:219], s[24:25], -v[170:171]
	v_add_f64 v[248:249], v[248:249], v[252:253]
	v_fmac_f64_e32 v[2:3], s[12:13], v[206:207]
	v_mul_f64 v[4:5], v[192:193], s[34:35]
	v_fma_f64 v[140:141], s[18:19], v[184:185], v[144:145]
	v_add_f64 v[142:143], v[142:143], v[150:151]
	v_mul_f64 v[162:163], v[234:235], s[48:49]
	v_fma_f64 v[168:169], v[214:215], s[22:23], -v[166:167]
	v_add_f64 v[172:173], v[172:173], v[248:249]
	v_add_f64 v[136:137], v[2:3], v[0:1]
	v_mul_f64 v[0:1], v[188:189], s[36:37]
	v_fma_f64 v[6:7], s[28:29], v[182:183], v[4:5]
	v_add_f64 v[140:141], v[140:141], v[142:143]
	v_mul_f64 v[154:155], v[232:233], s[46:47]
	v_fma_f64 v[164:165], v[212:213], s[10:11], -v[162:163]
	v_add_f64 v[168:169], v[168:169], v[172:173]
	v_fma_f64 v[2:3], s[14:15], v[180:181], v[0:1]
	v_add_f64 v[6:7], v[6:7], v[140:141]
	v_mul_f64 v[150:151], v[230:231], s[34:35]
	v_fma_f64 v[158:159], v[210:211], s[18:19], -v[154:155]
	v_add_f64 v[164:165], v[164:165], v[168:169]
	v_add_f64 v[142:143], v[2:3], v[6:7]
	v_mul_f64 v[2:3], v[228:229], s[36:37]
	v_fma_f64 v[140:141], v[208:209], s[28:29], -v[150:151]
	v_add_f64 v[158:159], v[158:159], v[164:165]
	v_fma_f64 v[6:7], v[206:207], s[14:15], -v[2:3]
	v_add_f64 v[140:141], v[140:141], v[158:159]
	v_add_f64 v[140:141], v[6:7], v[140:141]
	v_fma_f64 v[6:7], v[184:185], s[18:19], -v[144:145]
	v_fma_f64 v[144:145], v[186:187], s[10:11], -v[146:147]
	;; [unrolled: 1-line block ×6, first 2 shown]
	v_add_f64 v[156:157], v[86:87], v[156:157]
	v_add_f64 v[152:153], v[152:153], v[156:157]
	;; [unrolled: 1-line block ×5, first 2 shown]
	v_fma_f64 v[4:5], v[182:183], s[28:29], -v[4:5]
	v_add_f64 v[6:7], v[6:7], v[144:145]
	v_fma_f64 v[0:1], v[180:181], s[14:15], -v[0:1]
	v_add_f64 v[4:5], v[4:5], v[6:7]
	v_fmac_f64_e32 v[250:251], s[16:17], v[222:223]
	v_add_f64 v[146:147], v[0:1], v[4:5]
	v_fmac_f64_e32 v[174:175], s[12:13], v[220:221]
	;; [unrolled: 2-line block ×3, first 2 shown]
	v_add_f64 v[0:1], v[174:175], v[0:1]
	s_mov_b32 s57, 0x3fe0d888
	s_mov_b32 s56, s30
	v_mul_f64 v[168:169], v[226:227], s[20:21]
	v_fmac_f64_e32 v[166:167], s[22:23], v[214:215]
	v_add_f64 v[0:1], v[170:171], v[0:1]
	v_mul_f64 v[164:165], v[224:225], s[56:57]
	v_fma_f64 v[170:171], s[12:13], v[202:203], v[168:169]
	v_accvgpr_write_b32 a22, v48
	v_fmac_f64_e32 v[162:163], s[10:11], v[212:213]
	v_add_f64 v[0:1], v[166:167], v[0:1]
	s_mov_b32 s51, 0xbfeca52d
	s_mov_b32 s50, s36
	v_mul_f64 v[160:161], v[216:217], s[44:45]
	v_fma_f64 v[166:167], s[22:23], v[198:199], v[164:165]
	v_add_f64 v[170:171], v[86:87], v[170:171]
	v_mul_f64 v[8:9], v[242:243], s[20:21]
	v_accvgpr_write_b32 a23, v49
	v_accvgpr_write_b32 a24, v50
	;; [unrolled: 1-line block ×3, first 2 shown]
	v_mov_b64_e32 v[50:51], v[12:13]
	v_fmac_f64_e32 v[154:155], s[18:19], v[210:211]
	v_add_f64 v[0:1], v[162:163], v[0:1]
	v_mul_f64 v[156:157], v[204:205], s[50:51]
	v_fma_f64 v[162:163], s[18:19], v[194:195], v[160:161]
	v_add_f64 v[166:167], v[166:167], v[170:171]
	v_mul_f64 v[254:255], v[240:241], s[56:57]
	v_mov_b64_e32 v[48:49], v[10:11]
	v_fma_f64 v[10:11], v[222:223], s[12:13], -v[8:9]
	v_fmac_f64_e32 v[150:151], s[28:29], v[208:209]
	v_add_f64 v[0:1], v[154:155], v[0:1]
	v_mul_f64 v[154:155], v[200:201], s[34:35]
	v_fma_f64 v[158:159], s[14:15], v[190:191], v[156:157]
	v_add_f64 v[162:163], v[162:163], v[166:167]
	v_mul_f64 v[250:251], v[238:239], s[44:45]
	v_fma_f64 v[246:247], v[220:221], s[22:23], -v[254:255]
	v_add_f64 v[10:11], v[84:85], v[10:11]
	v_add_f64 v[0:1], v[150:151], v[0:1]
	v_mul_f64 v[152:153], v[196:197], s[48:49]
	v_fma_f64 v[150:151], s[28:29], v[186:187], v[154:155]
	v_add_f64 v[158:159], v[158:159], v[162:163]
	v_mul_f64 v[174:175], v[236:237], s[50:51]
	v_fma_f64 v[252:253], v[218:219], s[18:19], -v[250:251]
	v_add_f64 v[10:11], v[246:247], v[10:11]
	v_fmac_f64_e32 v[2:3], s[14:15], v[206:207]
	v_mul_f64 v[4:5], v[192:193], s[40:41]
	v_fma_f64 v[148:149], s[10:11], v[184:185], v[152:153]
	v_add_f64 v[150:151], v[150:151], v[158:159]
	v_mul_f64 v[170:171], v[234:235], s[34:35]
	v_fma_f64 v[248:249], v[214:215], s[14:15], -v[174:175]
	v_add_f64 v[10:11], v[252:253], v[10:11]
	v_add_f64 v[144:145], v[2:3], v[0:1]
	v_mul_f64 v[0:1], v[188:189], s[26:27]
	v_fma_f64 v[6:7], s[24:25], v[182:183], v[4:5]
	v_add_f64 v[148:149], v[148:149], v[150:151]
	v_mul_f64 v[162:163], v[232:233], s[48:49]
	v_fma_f64 v[172:173], v[212:213], s[28:29], -v[170:171]
	v_add_f64 v[10:11], v[248:249], v[10:11]
	v_fma_f64 v[2:3], s[16:17], v[180:181], v[0:1]
	v_add_f64 v[6:7], v[6:7], v[148:149]
	v_mul_f64 v[158:159], v[230:231], s[40:41]
	v_fma_f64 v[166:167], v[210:211], s[10:11], -v[162:163]
	v_add_f64 v[10:11], v[172:173], v[10:11]
	v_add_f64 v[150:151], v[2:3], v[6:7]
	v_mul_f64 v[2:3], v[228:229], s[26:27]
	v_fma_f64 v[148:149], v[208:209], s[24:25], -v[158:159]
	v_add_f64 v[10:11], v[166:167], v[10:11]
	v_fma_f64 v[6:7], v[206:207], s[16:17], -v[2:3]
	v_add_f64 v[10:11], v[148:149], v[10:11]
	v_add_f64 v[148:149], v[6:7], v[10:11]
	v_fma_f64 v[10:11], v[186:187], s[28:29], -v[154:155]
	v_fma_f64 v[154:155], v[194:195], s[18:19], -v[160:161]
	;; [unrolled: 1-line block ×6, first 2 shown]
	v_add_f64 v[160:161], v[86:87], v[160:161]
	v_add_f64 v[156:157], v[156:157], v[160:161]
	;; [unrolled: 1-line block ×5, first 2 shown]
	v_fma_f64 v[4:5], v[182:183], s[24:25], -v[4:5]
	v_add_f64 v[6:7], v[6:7], v[10:11]
	v_fma_f64 v[0:1], v[180:181], s[16:17], -v[0:1]
	v_add_f64 v[4:5], v[4:5], v[6:7]
	v_fmac_f64_e32 v[8:9], s[12:13], v[222:223]
	v_add_f64 v[154:155], v[0:1], v[4:5]
	v_fmac_f64_e32 v[254:255], s[22:23], v[220:221]
	;; [unrolled: 2-line block ×4, first 2 shown]
	v_add_f64 v[0:1], v[250:251], v[0:1]
	v_mul_f64 v[172:173], v[226:227], s[42:43]
	v_accvgpr_write_b32 a26, v52
	v_fmac_f64_e32 v[170:171], s[28:29], v[212:213]
	v_add_f64 v[0:1], v[174:175], v[0:1]
	v_mul_f64 v[168:169], v[224:225], s[34:35]
	v_fma_f64 v[174:175], s[10:11], v[202:203], v[172:173]
	v_accvgpr_write_b32 a27, v53
	v_accvgpr_write_b32 a28, v54
	v_accvgpr_write_b32 a29, v55
	v_mov_b64_e32 v[54:55], v[16:17]
	v_fmac_f64_e32 v[162:163], s[10:11], v[210:211]
	v_add_f64 v[0:1], v[170:171], v[0:1]
	v_mul_f64 v[164:165], v[216:217], s[52:53]
	v_fma_f64 v[170:171], s[28:29], v[198:199], v[168:169]
	v_add_f64 v[174:175], v[86:87], v[174:175]
	v_mov_b64_e32 v[52:53], v[14:15]
	v_mul_f64 v[16:17], v[242:243], s[42:43]
	v_fmac_f64_e32 v[158:159], s[24:25], v[208:209]
	v_add_f64 v[0:1], v[162:163], v[0:1]
	v_mul_f64 v[162:163], v[204:205], s[38:39]
	v_fma_f64 v[166:167], s[12:13], v[194:195], v[164:165]
	v_add_f64 v[170:171], v[170:171], v[174:175]
	v_mul_f64 v[12:13], v[240:241], s[34:35]
	v_fma_f64 v[18:19], v[222:223], s[10:11], -v[16:17]
	v_add_f64 v[0:1], v[158:159], v[0:1]
	v_mul_f64 v[160:161], v[200:201], s[50:51]
	v_fma_f64 v[158:159], s[24:25], v[190:191], v[162:163]
	v_add_f64 v[166:167], v[166:167], v[170:171]
	v_mul_f64 v[252:253], v[238:239], s[52:53]
	v_fma_f64 v[14:15], v[220:221], s[28:29], -v[12:13]
	;; [unrolled: 6-line block ×3, first 2 shown]
	v_add_f64 v[14:15], v[14:15], v[18:19]
	v_fmac_f64_e32 v[2:3], s[16:17], v[206:207]
	v_mul_f64 v[4:5], v[192:193], s[54:55]
	v_fma_f64 v[10:11], s[22:23], v[184:185], v[8:9]
	v_add_f64 v[156:157], v[156:157], v[158:159]
	v_mul_f64 v[174:175], v[234:235], s[50:51]
	v_fma_f64 v[250:251], v[214:215], s[24:25], -v[248:249]
	v_add_f64 v[14:15], v[254:255], v[14:15]
	v_add_f64 v[152:153], v[2:3], v[0:1]
	v_mul_f64 v[0:1], v[188:189], s[44:45]
	v_fma_f64 v[6:7], s[16:17], v[182:183], v[4:5]
	v_add_f64 v[10:11], v[10:11], v[156:157]
	v_mul_f64 v[166:167], v[232:233], s[30:31]
	v_fma_f64 v[246:247], v[212:213], s[14:15], -v[174:175]
	v_add_f64 v[14:15], v[250:251], v[14:15]
	v_fma_f64 v[2:3], s[18:19], v[180:181], v[0:1]
	v_add_f64 v[6:7], v[6:7], v[10:11]
	v_mul_f64 v[10:11], v[230:231], s[54:55]
	v_fma_f64 v[170:171], v[210:211], s[22:23], -v[166:167]
	v_add_f64 v[14:15], v[246:247], v[14:15]
	v_add_f64 v[158:159], v[2:3], v[6:7]
	v_mul_f64 v[2:3], v[228:229], s[44:45]
	v_fma_f64 v[156:157], v[208:209], s[16:17], -v[10:11]
	v_add_f64 v[14:15], v[170:171], v[14:15]
	v_fma_f64 v[6:7], v[206:207], s[18:19], -v[2:3]
	v_add_f64 v[14:15], v[156:157], v[14:15]
	v_add_f64 v[156:157], v[6:7], v[14:15]
	v_fma_f64 v[14:15], v[190:191], s[24:25], -v[162:163]
	v_fma_f64 v[162:163], v[202:203], s[10:11], -v[172:173]
	;; [unrolled: 1-line block ×5, first 2 shown]
	v_add_f64 v[162:163], v[86:87], v[162:163]
	v_fma_f64 v[18:19], v[194:195], s[12:13], -v[164:165]
	v_add_f64 v[160:161], v[160:161], v[162:163]
	v_add_f64 v[18:19], v[18:19], v[160:161]
	;; [unrolled: 1-line block ×4, first 2 shown]
	v_fma_f64 v[4:5], v[182:183], s[16:17], -v[4:5]
	v_add_f64 v[6:7], v[6:7], v[8:9]
	v_fma_f64 v[0:1], v[180:181], s[18:19], -v[0:1]
	v_add_f64 v[4:5], v[4:5], v[6:7]
	v_fmac_f64_e32 v[16:17], s[10:11], v[222:223]
	v_add_f64 v[162:163], v[0:1], v[4:5]
	v_fmac_f64_e32 v[12:13], s[28:29], v[220:221]
	;; [unrolled: 2-line block ×5, first 2 shown]
	v_add_f64 v[0:1], v[248:249], v[0:1]
	v_mul_f64 v[172:173], v[226:227], s[50:51]
	v_accvgpr_write_b32 a43, v35
	v_fmac_f64_e32 v[166:167], s[22:23], v[210:211]
	v_add_f64 v[0:1], v[174:175], v[0:1]
	s_mov_b32 s49, 0x3fc7851a
	s_mov_b32 s48, s34
	v_mul_f64 v[170:171], v[224:225], s[26:27]
	v_fma_f64 v[174:175], s[14:15], v[202:203], v[172:173]
	v_accvgpr_write_b32 a42, v34
	v_accvgpr_write_b32 a41, v33
	;; [unrolled: 1-line block ×3, first 2 shown]
	v_add_f64 v[0:1], v[166:167], v[0:1]
	v_mul_f64 v[168:169], v[216:217], s[48:49]
	v_fma_f64 v[166:167], s[16:17], v[198:199], v[170:171]
	v_add_f64 v[174:175], v[86:87], v[174:175]
	v_mul_f64 v[34:35], v[242:243], s[50:51]
	v_mul_f64 v[16:17], v[204:205], s[52:53]
	v_fma_f64 v[164:165], s[28:29], v[194:195], v[168:169]
	v_add_f64 v[166:167], v[166:167], v[174:175]
	v_accvgpr_write_b32 a0, v178
	v_mul_f64 v[178:179], v[240:241], s[26:27]
	v_fma_f64 v[124:125], v[222:223], s[14:15], -v[34:35]
	v_mul_f64 v[12:13], v[200:201], s[44:45]
	v_fma_f64 v[18:19], s[12:13], v[190:191], v[16:17]
	v_add_f64 v[164:165], v[164:165], v[166:167]
	v_mul_f64 v[252:253], v[238:239], s[48:49]
	v_fma_f64 v[32:33], v[220:221], s[16:17], -v[178:179]
	v_add_f64 v[124:125], v[84:85], v[124:125]
	v_fmac_f64_e32 v[10:11], s[16:17], v[208:209]
	v_mul_f64 v[8:9], v[196:197], s[40:41]
	v_fma_f64 v[14:15], s[18:19], v[186:187], v[12:13]
	v_add_f64 v[18:19], v[18:19], v[164:165]
	v_mul_f64 v[248:249], v[236:237], s[52:53]
	v_fma_f64 v[254:255], v[218:219], s[28:29], -v[252:253]
	v_add_f64 v[32:33], v[32:33], v[124:125]
	v_fmac_f64_e32 v[2:3], s[18:19], v[206:207]
	v_add_f64 v[0:1], v[10:11], v[0:1]
	v_mul_f64 v[4:5], v[192:193], s[42:43]
	v_fma_f64 v[10:11], s[24:25], v[184:185], v[8:9]
	v_add_f64 v[14:15], v[14:15], v[18:19]
	v_mul_f64 v[246:247], v[234:235], s[44:45]
	v_fma_f64 v[250:251], v[214:215], s[12:13], -v[248:249]
	v_add_f64 v[32:33], v[254:255], v[32:33]
	v_add_f64 v[160:161], v[2:3], v[0:1]
	v_mul_f64 v[0:1], v[188:189], s[30:31]
	v_fma_f64 v[6:7], s[10:11], v[182:183], v[4:5]
	v_add_f64 v[10:11], v[10:11], v[14:15]
	v_mul_f64 v[18:19], v[232:233], s[40:41]
	v_fma_f64 v[174:175], v[212:213], s[18:19], -v[246:247]
	v_add_f64 v[32:33], v[250:251], v[32:33]
	v_fma_f64 v[2:3], s[22:23], v[180:181], v[0:1]
	v_add_f64 v[6:7], v[6:7], v[10:11]
	v_mul_f64 v[10:11], v[230:231], s[42:43]
	v_fma_f64 v[164:165], v[210:211], s[24:25], -v[18:19]
	v_add_f64 v[32:33], v[174:175], v[32:33]
	v_add_f64 v[166:167], v[2:3], v[6:7]
	v_mul_f64 v[2:3], v[228:229], s[30:31]
	v_fma_f64 v[14:15], v[208:209], s[10:11], -v[10:11]
	v_add_f64 v[32:33], v[164:165], v[32:33]
	v_fma_f64 v[6:7], v[206:207], s[22:23], -v[2:3]
	v_add_f64 v[14:15], v[14:15], v[32:33]
	;; [unrolled: 2-line block ×3, first 2 shown]
	v_fma_f64 v[6:7], v[184:185], s[24:25], -v[8:9]
	v_fma_f64 v[8:9], v[186:187], s[18:19], -v[12:13]
	v_fma_f64 v[12:13], v[190:191], s[12:13], -v[16:17]
	v_fma_f64 v[16:17], v[198:199], s[16:17], -v[170:171]
	v_add_f64 v[32:33], v[86:87], v[32:33]
	v_fma_f64 v[14:15], v[194:195], s[28:29], -v[168:169]
	v_add_f64 v[16:17], v[16:17], v[32:33]
	v_add_f64 v[14:15], v[14:15], v[16:17]
	;; [unrolled: 1-line block ×4, first 2 shown]
	v_fma_f64 v[4:5], v[182:183], s[10:11], -v[4:5]
	v_add_f64 v[6:7], v[6:7], v[8:9]
	v_fma_f64 v[0:1], v[180:181], s[22:23], -v[0:1]
	v_add_f64 v[4:5], v[4:5], v[6:7]
	v_fmac_f64_e32 v[34:35], s[14:15], v[222:223]
	v_add_f64 v[174:175], v[0:1], v[4:5]
	v_fmac_f64_e32 v[178:179], s[16:17], v[220:221]
	;; [unrolled: 2-line block ×3, first 2 shown]
	v_add_f64 v[0:1], v[178:179], v[0:1]
	v_mul_f64 v[178:179], v[226:227], s[46:47]
	v_fmac_f64_e32 v[248:249], s[12:13], v[214:215]
	v_add_f64 v[0:1], v[252:253], v[0:1]
	v_mul_f64 v[124:125], v[224:225], s[42:43]
	v_fma_f64 v[168:169], s[18:19], v[202:203], v[178:179]
	v_fmac_f64_e32 v[246:247], s[18:19], v[212:213]
	v_add_f64 v[0:1], v[248:249], v[0:1]
	v_mul_f64 v[32:33], v[216:217], s[26:27]
	v_fma_f64 v[126:127], s[10:11], v[198:199], v[124:125]
	v_add_f64 v[168:169], v[86:87], v[168:169]
	v_mul_f64 v[38:39], v[242:243], s[46:47]
	v_fmac_f64_e32 v[18:19], s[24:25], v[210:211]
	v_add_f64 v[0:1], v[246:247], v[0:1]
	v_mul_f64 v[16:17], v[204:205], s[34:35]
	v_fma_f64 v[34:35], s[16:17], v[194:195], v[32:33]
	v_add_f64 v[126:127], v[126:127], v[168:169]
	v_mul_f64 v[254:255], v[240:241], s[42:43]
	v_fma_f64 v[128:129], v[222:223], s[18:19], -v[38:39]
	v_add_f64 v[0:1], v[18:19], v[0:1]
	v_mul_f64 v[12:13], v[200:201], s[56:57]
	v_fma_f64 v[18:19], s[28:29], v[190:191], v[16:17]
	v_add_f64 v[34:35], v[34:35], v[126:127]
	v_mul_f64 v[252:253], v[238:239], s[26:27]
	v_fma_f64 v[36:37], v[220:221], s[10:11], -v[254:255]
	v_add_f64 v[128:129], v[84:85], v[128:129]
	v_fmac_f64_e32 v[10:11], s[10:11], v[208:209]
	v_mul_f64 v[8:9], v[196:197], s[52:53]
	v_fma_f64 v[14:15], s[22:23], v[186:187], v[12:13]
	v_add_f64 v[18:19], v[18:19], v[34:35]
	v_mul_f64 v[246:247], v[236:237], s[34:35]
	v_fma_f64 v[250:251], v[218:219], s[16:17], -v[252:253]
	v_add_f64 v[36:37], v[36:37], v[128:129]
	v_fmac_f64_e32 v[2:3], s[22:23], v[206:207]
	v_add_f64 v[0:1], v[10:11], v[0:1]
	v_mul_f64 v[4:5], v[192:193], s[36:37]
	v_fma_f64 v[10:11], s[12:13], v[184:185], v[8:9]
	v_add_f64 v[14:15], v[14:15], v[18:19]
	v_mul_f64 v[126:127], v[234:235], s[56:57]
	v_fma_f64 v[248:249], v[214:215], s[28:29], -v[246:247]
	v_add_f64 v[36:37], v[250:251], v[36:37]
	v_add_f64 v[172:173], v[2:3], v[0:1]
	v_mul_f64 v[0:1], v[188:189], s[38:39]
	v_fma_f64 v[6:7], s[14:15], v[182:183], v[4:5]
	v_add_f64 v[10:11], v[10:11], v[14:15]
	v_mul_f64 v[18:19], v[232:233], s[52:53]
	v_fma_f64 v[168:169], v[212:213], s[22:23], -v[126:127]
	v_add_f64 v[36:37], v[248:249], v[36:37]
	v_fma_f64 v[2:3], s[24:25], v[180:181], v[0:1]
	v_add_f64 v[6:7], v[6:7], v[10:11]
	v_mul_f64 v[10:11], v[230:231], s[36:37]
	v_fma_f64 v[34:35], v[210:211], s[12:13], -v[18:19]
	v_add_f64 v[36:37], v[168:169], v[36:37]
	v_add_f64 v[170:171], v[2:3], v[6:7]
	v_mul_f64 v[2:3], v[228:229], s[38:39]
	v_fma_f64 v[14:15], v[208:209], s[14:15], -v[10:11]
	v_add_f64 v[34:35], v[34:35], v[36:37]
	v_fma_f64 v[6:7], v[206:207], s[24:25], -v[2:3]
	v_add_f64 v[14:15], v[14:15], v[34:35]
	v_add_f64 v[168:169], v[6:7], v[14:15]
	v_fma_f64 v[14:15], v[194:195], s[16:17], -v[32:33]
	v_fma_f64 v[32:33], v[202:203], s[18:19], -v[178:179]
	;; [unrolled: 1-line block ×6, first 2 shown]
	v_add_f64 v[32:33], v[86:87], v[32:33]
	v_add_f64 v[16:17], v[16:17], v[32:33]
	;; [unrolled: 1-line block ×5, first 2 shown]
	v_fma_f64 v[4:5], v[182:183], s[14:15], -v[4:5]
	v_add_f64 v[6:7], v[6:7], v[8:9]
	v_fma_f64 v[0:1], v[180:181], s[24:25], -v[0:1]
	v_add_f64 v[4:5], v[4:5], v[6:7]
	v_fmac_f64_e32 v[38:39], s[18:19], v[222:223]
	v_add_f64 v[250:251], v[0:1], v[4:5]
	v_fmac_f64_e32 v[254:255], s[10:11], v[220:221]
	;; [unrolled: 2-line block ×5, first 2 shown]
	v_add_f64 v[0:1], v[246:247], v[0:1]
	v_mul_f64 v[124:125], v[226:227], s[40:41]
	v_add_f64 v[0:1], v[126:127], v[0:1]
	v_mul_f64 v[36:37], v[224:225], s[46:47]
	v_fma_f64 v[126:127], s[24:25], v[202:203], v[124:125]
	v_fmac_f64_e32 v[18:19], s[12:13], v[210:211]
	v_mul_f64 v[12:13], v[200:201], s[20:21]
	v_mul_f64 v[32:33], v[216:217], s[50:51]
	v_fma_f64 v[38:39], s[18:19], v[198:199], v[36:37]
	v_add_f64 v[126:127], v[86:87], v[126:127]
	v_mul_f64 v[200:201], v[242:243], s[40:41]
	v_fmac_f64_e32 v[10:11], s[14:15], v[208:209]
	v_add_f64 v[0:1], v[18:19], v[0:1]
	v_mul_f64 v[4:5], v[192:193], s[30:31]
	v_mul_f64 v[16:17], v[204:205], s[42:43]
	v_fma_f64 v[34:35], s[14:15], v[194:195], v[32:33]
	v_add_f64 v[38:39], v[38:39], v[126:127]
	v_mul_f64 v[192:193], v[240:241], s[46:47]
	v_fma_f64 v[204:205], v[222:223], s[24:25], -v[200:201]
	v_fmac_f64_e32 v[2:3], s[24:25], v[206:207]
	v_add_f64 v[0:1], v[10:11], v[0:1]
	v_mul_f64 v[8:9], v[196:197], s[26:27]
	v_fma_f64 v[18:19], s[10:11], v[190:191], v[16:17]
	v_add_f64 v[34:35], v[34:35], v[38:39]
	v_mul_f64 v[178:179], v[238:239], s[50:51]
	v_fma_f64 v[196:197], v[220:221], s[18:19], -v[192:193]
	v_add_f64 v[204:205], v[84:85], v[204:205]
	v_add_f64 v[248:249], v[2:3], v[0:1]
	v_mul_f64 v[0:1], v[188:189], s[34:35]
	v_fma_f64 v[14:15], s[12:13], v[186:187], v[12:13]
	v_add_f64 v[18:19], v[18:19], v[34:35]
	v_mul_f64 v[128:129], v[236:237], s[42:43]
	v_fma_f64 v[188:189], v[218:219], s[14:15], -v[178:179]
	v_add_f64 v[196:197], v[196:197], v[204:205]
	v_fma_f64 v[10:11], s[16:17], v[184:185], v[8:9]
	v_add_f64 v[14:15], v[14:15], v[18:19]
	v_mul_f64 v[38:39], v[234:235], s[20:21]
	v_fma_f64 v[130:131], v[214:215], s[10:11], -v[128:129]
	v_add_f64 v[188:189], v[188:189], v[196:197]
	;; [unrolled: 5-line block ×4, first 2 shown]
	v_add_f64 v[226:227], v[2:3], v[6:7]
	v_mul_f64 v[2:3], v[228:229], s[34:35]
	v_fma_f64 v[14:15], v[208:209], s[22:23], -v[10:11]
	v_add_f64 v[34:35], v[34:35], v[126:127]
	v_fma_f64 v[6:7], v[206:207], s[28:29], -v[2:3]
	v_add_f64 v[14:15], v[14:15], v[34:35]
	v_add_f64 v[224:225], v[6:7], v[14:15]
	v_fma_f64 v[14:15], v[194:195], s[14:15], -v[32:33]
	v_fma_f64 v[32:33], v[202:203], s[24:25], -v[124:125]
	;; [unrolled: 1-line block ×6, first 2 shown]
	v_add_f64 v[32:33], v[86:87], v[32:33]
	v_add_f64 v[16:17], v[16:17], v[32:33]
	;; [unrolled: 1-line block ×5, first 2 shown]
	v_fma_f64 v[4:5], v[182:183], s[22:23], -v[4:5]
	v_add_f64 v[6:7], v[6:7], v[8:9]
	v_fma_f64 v[0:1], v[180:181], s[28:29], -v[0:1]
	v_add_f64 v[4:5], v[4:5], v[6:7]
	v_fmac_f64_e32 v[200:201], s[24:25], v[222:223]
	v_add_f64 v[182:183], v[0:1], v[4:5]
	v_fmac_f64_e32 v[192:193], s[18:19], v[220:221]
	v_add_f64 v[0:1], v[84:85], v[200:201]
	v_fmac_f64_e32 v[178:179], s[14:15], v[218:219]
	v_add_f64 v[0:1], v[192:193], v[0:1]
	v_fmac_f64_e32 v[128:129], s[10:11], v[214:215]
	v_add_f64 v[0:1], v[178:179], v[0:1]
	v_fmac_f64_e32 v[38:39], s[12:13], v[212:213]
	v_add_f64 v[0:1], v[128:129], v[0:1]
	v_fmac_f64_e32 v[18:19], s[16:17], v[210:211]
	v_add_f64 v[0:1], v[38:39], v[0:1]
	v_fmac_f64_e32 v[10:11], s[22:23], v[208:209]
	v_add_f64 v[0:1], v[18:19], v[0:1]
	v_fmac_f64_e32 v[2:3], s[28:29], v[206:207]
	v_add_f64 v[0:1], v[10:11], v[0:1]
	v_add_f64 v[180:181], v[2:3], v[0:1]
	;; [unrolled: 1-line block ×14, first 2 shown]
	v_accvgpr_read_b32 v4, a40
	v_add_f64 v[0:1], v[50:51], v[0:1]
	v_accvgpr_read_b32 v6, a42
	v_accvgpr_read_b32 v7, a43
	v_add_f64 v[0:1], v[6:7], v[0:1]
	v_add_f64 v[0:1], v[46:47], v[0:1]
	v_add_f64 v[2:3], v[42:43], v[0:1]
	v_add_f64 v[0:1], v[84:85], v[88:89]
	v_add_f64 v[0:1], v[76:77], v[0:1]
	v_add_f64 v[0:1], v[100:101], v[0:1]
	v_add_f64 v[0:1], v[104:105], v[0:1]
	v_add_f64 v[0:1], v[80:81], v[0:1]
	v_add_f64 v[0:1], v[108:109], v[0:1]
	v_add_f64 v[0:1], v[112:113], v[0:1]
	v_add_f64 v[0:1], v[92:93], v[0:1]
	v_add_f64 v[0:1], v[116:117], v[0:1]
	v_add_f64 v[0:1], v[120:121], v[0:1]
	v_add_f64 v[0:1], v[96:97], v[0:1]
	v_add_f64 v[0:1], v[52:53], v[0:1]
	v_accvgpr_read_b32 v5, a41
	v_add_f64 v[0:1], v[48:49], v[0:1]
	v_accvgpr_read_b32 v178, a0
	v_add_f64 v[0:1], v[4:5], v[0:1]
	v_add_f64 v[0:1], v[44:45], v[0:1]
	v_mul_lo_u16_e32 v4, 17, v178
	v_add_f64 v[0:1], v[40:41], v[0:1]
	v_lshl_add_u32 v4, v4, 4, v245
	v_accvgpr_read_b32 v55, a29
	v_accvgpr_read_b32 v51, a25
	;; [unrolled: 1-line block ×4, first 2 shown]
	ds_write_b128 v4, v[0:3]
	ds_write_b128 v4, v[180:183] offset:16
	ds_write_b128 v4, v[248:251] offset:32
	;; [unrolled: 1-line block ×12, first 2 shown]
	v_accvgpr_read_b32 v153, a13
	v_accvgpr_read_b32 v149, a9
	;; [unrolled: 1-line block ×24, first 2 shown]
	ds_write_b128 v4, v[156:159] offset:208
	ds_write_b128 v4, v[164:167] offset:224
	;; [unrolled: 1-line block ×4, first 2 shown]
	v_accvgpr_read_b32 v224, a4
.LBB0_13:
	s_or_b64 exec, exec, s[0:1]
	s_waitcnt lgkmcnt(0)
	s_barrier
	ds_read_b128 v[0:3], v176
	ds_read_b128 v[4:7], v176 offset:272
	ds_read_b128 v[8:11], v176 offset:1632
	;; [unrolled: 1-line block ×11, first 2 shown]
	s_waitcnt lgkmcnt(7)
	v_mul_f64 v[32:33], v[30:31], v[18:19]
	v_fmac_f64_e32 v[32:33], v[28:29], v[16:17]
	v_mul_f64 v[16:17], v[30:31], v[16:17]
	s_waitcnt lgkmcnt(5)
	v_mul_f64 v[36:37], v[30:31], v[82:83]
	v_mul_f64 v[30:31], v[30:31], v[80:81]
	v_fma_f64 v[16:17], v[28:29], v[18:19], -v[16:17]
	v_mul_f64 v[18:19], v[26:27], v[10:11]
	v_fmac_f64_e32 v[36:37], v[28:29], v[80:81]
	v_fma_f64 v[28:29], v[28:29], v[82:83], -v[30:31]
	v_mul_f64 v[30:31], v[26:27], v[14:15]
	v_fmac_f64_e32 v[18:19], v[24:25], v[8:9]
	v_mul_f64 v[8:9], v[26:27], v[8:9]
	v_fmac_f64_e32 v[30:31], v[24:25], v[12:13]
	v_mul_f64 v[12:13], v[26:27], v[12:13]
	v_fma_f64 v[8:9], v[24:25], v[10:11], -v[8:9]
	s_waitcnt lgkmcnt(3)
	v_mul_f64 v[10:11], v[22:23], v[90:91]
	v_mul_f64 v[34:35], v[22:23], v[88:89]
	v_fma_f64 v[24:25], v[24:25], v[14:15], -v[12:13]
	s_waitcnt lgkmcnt(1)
	v_mul_f64 v[26:27], v[22:23], v[98:99]
	v_mul_f64 v[12:13], v[22:23], v[96:97]
	v_fmac_f64_e32 v[10:11], v[20:21], v[88:89]
	v_fma_f64 v[34:35], v[20:21], v[90:91], -v[34:35]
	v_fmac_f64_e32 v[26:27], v[20:21], v[96:97]
	v_fma_f64 v[20:21], v[20:21], v[98:99], -v[12:13]
	v_mul_f64 v[38:39], v[42:43], v[86:87]
	v_mul_f64 v[12:13], v[42:43], v[84:85]
	v_fmac_f64_e32 v[38:39], v[40:41], v[84:85]
	v_fma_f64 v[40:41], v[40:41], v[86:87], -v[12:13]
	v_mul_f64 v[12:13], v[152:153], v[92:93]
	v_fma_f64 v[80:81], v[150:151], v[94:95], -v[12:13]
	s_waitcnt lgkmcnt(0)
	v_mul_f64 v[12:13], v[148:149], v[100:101]
	v_add_f64 v[22:23], v[2:3], -v[8:9]
	v_add_f64 v[34:35], v[16:17], -v[34:35]
	v_fma_f64 v[84:85], v[146:147], v[102:103], -v[12:13]
	v_fma_f64 v[12:13], v[2:3], 2.0, -v[22:23]
	v_fma_f64 v[2:3], v[16:17], 2.0, -v[34:35]
	v_add_f64 v[18:19], v[0:1], -v[18:19]
	v_add_f64 v[14:15], v[32:33], -v[10:11]
	;; [unrolled: 1-line block ×3, first 2 shown]
	v_mul_f64 v[42:43], v[152:153], v[94:95]
	v_fma_f64 v[8:9], v[0:1], 2.0, -v[18:19]
	v_fma_f64 v[0:1], v[32:33], 2.0, -v[14:15]
	;; [unrolled: 1-line block ×3, first 2 shown]
	v_add_f64 v[12:13], v[18:19], v[34:35]
	v_add_f64 v[14:15], v[22:23], -v[14:15]
	v_add_f64 v[30:31], v[4:5], -v[30:31]
	;; [unrolled: 1-line block ×5, first 2 shown]
	v_fmac_f64_e32 v[42:43], v[150:151], v[92:93]
	v_mul_f64 v[82:83], v[148:149], v[102:103]
	v_fma_f64 v[16:17], v[18:19], 2.0, -v[12:13]
	v_fma_f64 v[18:19], v[22:23], 2.0, -v[14:15]
	;; [unrolled: 1-line block ×6, first 2 shown]
	v_add_f64 v[80:81], v[78:79], -v[80:81]
	v_fmac_f64_e32 v[82:83], v[146:147], v[100:101]
	v_add_f64 v[4:5], v[22:23], -v[4:5]
	v_add_f64 v[6:7], v[24:25], -v[6:7]
	;; [unrolled: 1-line block ×3, first 2 shown]
	v_fma_f64 v[42:43], v[78:79], 2.0, -v[80:81]
	v_add_f64 v[78:79], v[40:41], -v[84:85]
	v_fma_f64 v[20:21], v[22:23], 2.0, -v[4:5]
	v_fma_f64 v[22:23], v[24:25], 2.0, -v[6:7]
	v_add_f64 v[24:25], v[30:31], v[34:35]
	v_add_f64 v[26:27], v[32:33], -v[26:27]
	v_fma_f64 v[36:37], v[76:77], 2.0, -v[86:87]
	v_add_f64 v[76:77], v[38:39], -v[82:83]
	v_fma_f64 v[34:35], v[40:41], 2.0, -v[78:79]
	v_fma_f64 v[28:29], v[30:31], 2.0, -v[24:25]
	;; [unrolled: 1-line block ×4, first 2 shown]
	v_add_f64 v[34:35], v[42:43], -v[34:35]
	v_add_f64 v[0:1], v[8:9], -v[0:1]
	;; [unrolled: 1-line block ×3, first 2 shown]
	v_fma_f64 v[38:39], v[42:43], 2.0, -v[34:35]
	v_add_f64 v[40:41], v[86:87], v[78:79]
	v_add_f64 v[42:43], v[80:81], -v[76:77]
	v_fma_f64 v[8:9], v[8:9], 2.0, -v[0:1]
	v_fma_f64 v[36:37], v[36:37], 2.0, -v[32:33]
	;; [unrolled: 1-line block ×4, first 2 shown]
	s_barrier
	ds_write_b128 v176, v[8:11]
	ds_write_b128 v176, v[16:19] offset:272
	ds_write_b128 v176, v[0:3] offset:544
	;; [unrolled: 1-line block ×11, first 2 shown]
	s_waitcnt lgkmcnt(0)
	s_barrier
	ds_read_b128 v[0:3], v176
	ds_read_b128 v[4:7], v176 offset:272
	ds_read_b128 v[16:19], v176 offset:1088
	ds_read_b128 v[20:23], v176 offset:1360
	ds_read_b128 v[24:27], v176 offset:2176
	ds_read_b128 v[28:31], v176 offset:2448
	ds_read_b128 v[8:11], v176 offset:544
	ds_read_b128 v[12:15], v176 offset:816
	ds_read_b128 v[32:35], v176 offset:1632
	ds_read_b128 v[36:39], v176 offset:1904
	ds_read_b128 v[40:43], v176 offset:2720
	ds_read_b128 v[76:79], v176 offset:2992
	s_waitcnt lgkmcnt(9)
	v_mul_f64 v[80:81], v[50:51], v[18:19]
	v_fmac_f64_e32 v[80:81], v[48:49], v[16:17]
	v_mul_f64 v[16:17], v[50:51], v[16:17]
	v_fma_f64 v[48:49], v[48:49], v[18:19], -v[16:17]
	s_waitcnt lgkmcnt(7)
	v_mul_f64 v[50:51], v[46:47], v[26:27]
	v_mul_f64 v[16:17], v[46:47], v[24:25]
	v_fmac_f64_e32 v[50:51], v[44:45], v[24:25]
	v_fma_f64 v[24:25], v[44:45], v[26:27], -v[16:17]
	v_mul_f64 v[16:17], v[58:59], v[20:21]
	v_mul_f64 v[44:45], v[58:59], v[22:23]
	v_fma_f64 v[46:47], v[56:57], v[22:23], -v[16:17]
	s_waitcnt lgkmcnt(6)
	v_mul_f64 v[16:17], v[54:55], v[28:29]
	v_fmac_f64_e32 v[44:45], v[56:57], v[20:21]
	v_mul_f64 v[56:57], v[54:55], v[30:31]
	v_fma_f64 v[30:31], v[52:53], v[30:31], -v[16:17]
	s_waitcnt lgkmcnt(3)
	v_mul_f64 v[16:17], v[66:67], v[32:33]
	v_fma_f64 v[54:55], v[64:65], v[34:35], -v[16:17]
	s_waitcnt lgkmcnt(1)
	v_mul_f64 v[58:59], v[62:63], v[42:43]
	v_mul_f64 v[16:17], v[62:63], v[40:41]
	v_fmac_f64_e32 v[58:59], v[60:61], v[40:41]
	v_fma_f64 v[40:41], v[60:61], v[42:43], -v[16:17]
	v_mul_f64 v[16:17], v[74:75], v[36:37]
	v_fma_f64 v[62:63], v[72:73], v[38:39], -v[16:17]
	s_waitcnt lgkmcnt(0)
	v_mul_f64 v[16:17], v[70:71], v[76:77]
	v_add_f64 v[18:19], v[80:81], v[50:51]
	s_mov_b32 s0, 0xe8584caa
	v_fmac_f64_e32 v[56:57], v[52:53], v[28:29]
	v_mul_f64 v[52:53], v[66:67], v[34:35]
	v_fma_f64 v[66:67], v[68:69], v[78:79], -v[16:17]
	v_add_f64 v[16:17], v[0:1], v[80:81]
	v_fmac_f64_e32 v[0:1], -0.5, v[18:19]
	v_add_f64 v[18:19], v[48:49], -v[24:25]
	s_mov_b32 s1, 0xbfebb67a
	s_mov_b32 s11, 0x3febb67a
	s_mov_b32 s10, s0
	v_fma_f64 v[20:21], s[0:1], v[18:19], v[0:1]
	v_fmac_f64_e32 v[0:1], s[10:11], v[18:19]
	v_add_f64 v[18:19], v[2:3], v[48:49]
	v_add_f64 v[22:23], v[48:49], v[24:25]
	v_add_f64 v[18:19], v[18:19], v[24:25]
	v_fmac_f64_e32 v[2:3], -0.5, v[22:23]
	v_add_f64 v[24:25], v[80:81], -v[50:51]
	v_add_f64 v[26:27], v[44:45], v[56:57]
	v_fma_f64 v[22:23], s[10:11], v[24:25], v[2:3]
	v_fmac_f64_e32 v[2:3], s[0:1], v[24:25]
	v_add_f64 v[24:25], v[4:5], v[44:45]
	v_fmac_f64_e32 v[4:5], -0.5, v[26:27]
	v_add_f64 v[26:27], v[46:47], -v[30:31]
	v_fma_f64 v[28:29], s[0:1], v[26:27], v[4:5]
	v_fmac_f64_e32 v[4:5], s[10:11], v[26:27]
	v_add_f64 v[26:27], v[6:7], v[46:47]
	v_fmac_f64_e32 v[52:53], v[64:65], v[32:33]
	v_add_f64 v[26:27], v[26:27], v[30:31]
	v_add_f64 v[30:31], v[46:47], v[30:31]
	v_fmac_f64_e32 v[6:7], -0.5, v[30:31]
	v_add_f64 v[32:33], v[44:45], -v[56:57]
	v_add_f64 v[34:35], v[52:53], v[58:59]
	v_mul_f64 v[60:61], v[74:75], v[38:39]
	v_mul_f64 v[64:65], v[70:71], v[78:79]
	v_fma_f64 v[30:31], s[10:11], v[32:33], v[6:7]
	v_fmac_f64_e32 v[6:7], s[0:1], v[32:33]
	v_add_f64 v[32:33], v[8:9], v[52:53]
	v_fmac_f64_e32 v[8:9], -0.5, v[34:35]
	v_add_f64 v[34:35], v[54:55], -v[40:41]
	v_fmac_f64_e32 v[60:61], v[72:73], v[36:37]
	v_fmac_f64_e32 v[64:65], v[68:69], v[76:77]
	v_fma_f64 v[36:37], s[0:1], v[34:35], v[8:9]
	v_fmac_f64_e32 v[8:9], s[10:11], v[34:35]
	v_add_f64 v[34:35], v[10:11], v[54:55]
	v_add_f64 v[38:39], v[54:55], v[40:41]
	;; [unrolled: 1-line block ×3, first 2 shown]
	v_fmac_f64_e32 v[10:11], -0.5, v[38:39]
	v_add_f64 v[40:41], v[52:53], -v[58:59]
	v_add_f64 v[42:43], v[60:61], v[64:65]
	v_fma_f64 v[38:39], s[10:11], v[40:41], v[10:11]
	v_fmac_f64_e32 v[10:11], s[0:1], v[40:41]
	v_add_f64 v[40:41], v[12:13], v[60:61]
	v_fmac_f64_e32 v[12:13], -0.5, v[42:43]
	v_add_f64 v[42:43], v[62:63], -v[66:67]
	v_add_f64 v[46:47], v[62:63], v[66:67]
	v_add_f64 v[16:17], v[16:17], v[50:51]
	v_fma_f64 v[44:45], s[0:1], v[42:43], v[12:13]
	v_fmac_f64_e32 v[12:13], s[10:11], v[42:43]
	v_add_f64 v[42:43], v[14:15], v[62:63]
	v_fmac_f64_e32 v[14:15], -0.5, v[46:47]
	v_add_f64 v[48:49], v[60:61], -v[64:65]
	v_add_f64 v[24:25], v[24:25], v[56:57]
	v_add_f64 v[32:33], v[32:33], v[58:59]
	;; [unrolled: 1-line block ×4, first 2 shown]
	v_fma_f64 v[46:47], s[10:11], v[48:49], v[14:15]
	v_fmac_f64_e32 v[14:15], s[0:1], v[48:49]
	ds_write_b128 v244, v[16:19]
	ds_write_b128 v244, v[20:23] offset:1088
	ds_write_b128 v244, v[0:3] offset:2176
	ds_write_b128 v244, v[24:27] offset:272
	ds_write_b128 v244, v[28:31] offset:1360
	ds_write_b128 v244, v[4:7] offset:2448
	ds_write_b128 v244, v[32:35] offset:544
	ds_write_b128 v125, v[36:39] offset:1088
	ds_write_b128 v125, v[8:11] offset:2176
	ds_write_b128 v244, v[40:43] offset:816
	ds_write_b128 v124, v[44:47] offset:1088
	ds_write_b128 v124, v[12:15] offset:2176
	s_waitcnt lgkmcnt(0)
	s_barrier
	s_and_b64 exec, exec, vcc
	s_cbranch_execz .LBB0_15
; %bb.14:
	global_load_dwordx4 v[4:7], v222, s[2:3]
	v_mad_u64_u32 v[16:17], s[0:1], s6, v224, 0
	v_mov_b32_e32 v0, s8
	v_mov_b32_e32 v1, s9
	v_mad_u64_u32 v[18:19], s[8:9], s4, v178, 0
	v_lshl_add_u32 v2, v223, 4, v222
	v_mov_b32_e32 v20, v17
	ds_read_b128 v[8:11], v244
	ds_read_b128 v[12:15], v2 offset:192
	v_mov_b32_e32 v22, v19
	v_mad_u64_u32 v[20:21], s[6:7], s7, v224, v[20:21]
	v_mad_u64_u32 v[22:23], s[6:7], s5, v178, v[22:23]
	v_mov_b32_e32 v17, v20
	v_mov_b32_e32 v19, v22
	v_lshl_add_u64 v[0:1], v[16:17], 4, v[0:1]
	s_mov_b32 s0, 0x14141414
	v_lshl_add_u64 v[16:17], v[18:19], 4, v[0:1]
	s_mov_b32 s1, 0x3f741414
	v_mov_b32_e32 v3, 0xc0
	s_mul_i32 s6, s5, 0xc0
	v_accvgpr_read_b32 v21, a2
	v_mov_b32_e32 v22, 0x180
	s_mul_i32 s7, s5, 0x180
	s_waitcnt vmcnt(0) lgkmcnt(1)
	v_mul_f64 v[18:19], v[10:11], v[6:7]
	v_mul_f64 v[6:7], v[8:9], v[6:7]
	v_fmac_f64_e32 v[18:19], v[8:9], v[4:5]
	v_fma_f64 v[6:7], v[4:5], v[10:11], -v[6:7]
	v_mul_f64 v[4:5], v[18:19], s[0:1]
	v_mul_f64 v[6:7], v[6:7], s[0:1]
	global_store_dwordx4 v[16:17], v[4:7], off
	global_load_dwordx4 v[4:7], v222, s[2:3] offset:192
	v_mad_u64_u32 v[16:17], s[8:9], s4, v3, v[16:17]
	v_add_u32_e32 v17, s6, v17
	s_waitcnt vmcnt(0) lgkmcnt(0)
	v_mul_f64 v[8:9], v[14:15], v[6:7]
	v_mul_f64 v[6:7], v[12:13], v[6:7]
	v_fmac_f64_e32 v[8:9], v[12:13], v[4:5]
	v_fma_f64 v[6:7], v[4:5], v[14:15], -v[6:7]
	v_mul_f64 v[4:5], v[8:9], s[0:1]
	v_mul_f64 v[6:7], v[6:7], s[0:1]
	global_store_dwordx4 v[16:17], v[4:7], off
	global_load_dwordx4 v[4:7], v222, s[2:3] offset:384
	ds_read_b128 v[8:11], v2 offset:384
	ds_read_b128 v[12:15], v2 offset:576
	v_mad_u64_u32 v[16:17], s[8:9], s4, v3, v[16:17]
	v_add_u32_e32 v17, s6, v17
	s_waitcnt vmcnt(0) lgkmcnt(1)
	v_mul_f64 v[18:19], v[10:11], v[6:7]
	v_mul_f64 v[6:7], v[8:9], v[6:7]
	v_fmac_f64_e32 v[18:19], v[8:9], v[4:5]
	v_fma_f64 v[6:7], v[4:5], v[10:11], -v[6:7]
	v_mul_f64 v[4:5], v[18:19], s[0:1]
	v_mul_f64 v[6:7], v[6:7], s[0:1]
	global_store_dwordx4 v[16:17], v[4:7], off
	global_load_dwordx4 v[4:7], v222, s[2:3] offset:576
	v_mad_u64_u32 v[16:17], s[8:9], s4, v3, v[16:17]
	v_add_u32_e32 v17, s6, v17
	v_mad_u64_u32 v[18:19], s[8:9], s4, v21, 0
	v_mov_b32_e32 v20, v19
	v_mad_u64_u32 v[20:21], s[8:9], s5, v21, v[20:21]
	v_mov_b32_e32 v19, v20
	v_lshl_add_u64 v[18:19], v[18:19], 4, v[0:1]
	s_waitcnt vmcnt(0) lgkmcnt(0)
	v_mul_f64 v[8:9], v[14:15], v[6:7]
	v_mul_f64 v[6:7], v[12:13], v[6:7]
	v_fmac_f64_e32 v[8:9], v[12:13], v[4:5]
	v_fma_f64 v[6:7], v[4:5], v[14:15], -v[6:7]
	v_mul_f64 v[4:5], v[8:9], s[0:1]
	v_mul_f64 v[6:7], v[6:7], s[0:1]
	global_store_dwordx4 v[16:17], v[4:7], off
	global_load_dwordx4 v[4:7], v222, s[2:3] offset:768
	ds_read_b128 v[8:11], v2 offset:768
	ds_read_b128 v[12:15], v2 offset:960
	v_mad_u64_u32 v[16:17], s[8:9], s4, v22, v[16:17]
	v_add_u32_e32 v17, s7, v17
	s_waitcnt vmcnt(0) lgkmcnt(1)
	v_mul_f64 v[20:21], v[10:11], v[6:7]
	v_mul_f64 v[6:7], v[8:9], v[6:7]
	v_fmac_f64_e32 v[20:21], v[8:9], v[4:5]
	v_fma_f64 v[6:7], v[4:5], v[10:11], -v[6:7]
	v_mul_f64 v[4:5], v[20:21], s[0:1]
	v_mul_f64 v[6:7], v[6:7], s[0:1]
	global_store_dwordx4 v[18:19], v[4:7], off
	global_load_dwordx4 v[4:7], v222, s[2:3] offset:960
	v_or_b32_e32 v21, 0x60, v178
	s_waitcnt vmcnt(0) lgkmcnt(0)
	v_mul_f64 v[8:9], v[14:15], v[6:7]
	v_mul_f64 v[6:7], v[12:13], v[6:7]
	v_fmac_f64_e32 v[8:9], v[12:13], v[4:5]
	v_fma_f64 v[6:7], v[4:5], v[14:15], -v[6:7]
	v_mul_f64 v[4:5], v[8:9], s[0:1]
	v_mul_f64 v[6:7], v[6:7], s[0:1]
	global_store_dwordx4 v[16:17], v[4:7], off
	global_load_dwordx4 v[4:7], v222, s[2:3] offset:1152
	ds_read_b128 v[8:11], v2 offset:1152
	ds_read_b128 v[12:15], v2 offset:1344
	v_mad_u64_u32 v[16:17], s[8:9], s4, v3, v[16:17]
	v_add_u32_e32 v17, s6, v17
	s_waitcnt vmcnt(0) lgkmcnt(1)
	v_mul_f64 v[18:19], v[10:11], v[6:7]
	v_mul_f64 v[6:7], v[8:9], v[6:7]
	v_fmac_f64_e32 v[18:19], v[8:9], v[4:5]
	v_fma_f64 v[6:7], v[4:5], v[10:11], -v[6:7]
	v_mul_f64 v[4:5], v[18:19], s[0:1]
	v_mul_f64 v[6:7], v[6:7], s[0:1]
	global_store_dwordx4 v[16:17], v[4:7], off
	global_load_dwordx4 v[4:7], v222, s[2:3] offset:1344
	v_mad_u64_u32 v[16:17], s[8:9], s4, v3, v[16:17]
	v_add_u32_e32 v17, s6, v17
	v_mad_u64_u32 v[18:19], s[8:9], s4, v21, 0
	v_mov_b32_e32 v20, v19
	v_mad_u64_u32 v[20:21], s[8:9], s5, v21, v[20:21]
	v_mov_b32_e32 v19, v20
	v_lshl_add_u64 v[18:19], v[18:19], 4, v[0:1]
	s_waitcnt vmcnt(0) lgkmcnt(0)
	v_mul_f64 v[8:9], v[14:15], v[6:7]
	v_mul_f64 v[6:7], v[12:13], v[6:7]
	v_fmac_f64_e32 v[8:9], v[12:13], v[4:5]
	v_fma_f64 v[6:7], v[4:5], v[14:15], -v[6:7]
	v_mul_f64 v[4:5], v[8:9], s[0:1]
	v_mul_f64 v[6:7], v[6:7], s[0:1]
	global_store_dwordx4 v[16:17], v[4:7], off
	global_load_dwordx4 v[4:7], v222, s[2:3] offset:1536
	ds_read_b128 v[8:11], v2 offset:1536
	ds_read_b128 v[12:15], v2 offset:1728
	v_mad_u64_u32 v[16:17], s[8:9], s4, v22, v[16:17]
	v_add_u32_e32 v17, s7, v17
	s_waitcnt vmcnt(0) lgkmcnt(1)
	v_mul_f64 v[20:21], v[10:11], v[6:7]
	v_mul_f64 v[6:7], v[8:9], v[6:7]
	v_fmac_f64_e32 v[20:21], v[8:9], v[4:5]
	v_fma_f64 v[6:7], v[4:5], v[10:11], -v[6:7]
	v_mul_f64 v[4:5], v[20:21], s[0:1]
	v_mul_f64 v[6:7], v[6:7], s[0:1]
	global_store_dwordx4 v[18:19], v[4:7], off
	global_load_dwordx4 v[4:7], v222, s[2:3] offset:1728
	v_or_b32_e32 v21, 0x90, v178
	s_waitcnt vmcnt(0) lgkmcnt(0)
	v_mul_f64 v[8:9], v[14:15], v[6:7]
	v_mul_f64 v[6:7], v[12:13], v[6:7]
	v_fmac_f64_e32 v[8:9], v[12:13], v[4:5]
	v_fma_f64 v[6:7], v[4:5], v[14:15], -v[6:7]
	v_mul_f64 v[4:5], v[8:9], s[0:1]
	v_mul_f64 v[6:7], v[6:7], s[0:1]
	global_store_dwordx4 v[16:17], v[4:7], off
	global_load_dwordx4 v[4:7], v222, s[2:3] offset:1920
	ds_read_b128 v[8:11], v2 offset:1920
	ds_read_b128 v[12:15], v2 offset:2112
	v_mad_u64_u32 v[16:17], s[8:9], s4, v3, v[16:17]
	v_add_u32_e32 v17, s6, v17
	s_waitcnt vmcnt(0) lgkmcnt(1)
	v_mul_f64 v[18:19], v[10:11], v[6:7]
	v_mul_f64 v[6:7], v[8:9], v[6:7]
	v_fmac_f64_e32 v[18:19], v[8:9], v[4:5]
	v_fma_f64 v[6:7], v[4:5], v[10:11], -v[6:7]
	v_mul_f64 v[4:5], v[18:19], s[0:1]
	v_mul_f64 v[6:7], v[6:7], s[0:1]
	global_store_dwordx4 v[16:17], v[4:7], off
	global_load_dwordx4 v[4:7], v222, s[2:3] offset:2112
	v_mad_u64_u32 v[16:17], s[8:9], s4, v3, v[16:17]
	v_add_u32_e32 v17, s6, v17
	v_mad_u64_u32 v[18:19], s[8:9], s4, v21, 0
	v_mov_b32_e32 v20, v19
	v_mad_u64_u32 v[20:21], s[8:9], s5, v21, v[20:21]
	v_mov_b32_e32 v19, v20
	v_lshl_add_u64 v[18:19], v[18:19], 4, v[0:1]
	s_waitcnt vmcnt(0) lgkmcnt(0)
	v_mul_f64 v[8:9], v[14:15], v[6:7]
	v_mul_f64 v[6:7], v[12:13], v[6:7]
	v_fmac_f64_e32 v[8:9], v[12:13], v[4:5]
	v_fma_f64 v[6:7], v[4:5], v[14:15], -v[6:7]
	v_mul_f64 v[4:5], v[8:9], s[0:1]
	v_mul_f64 v[6:7], v[6:7], s[0:1]
	global_store_dwordx4 v[16:17], v[4:7], off
	global_load_dwordx4 v[4:7], v222, s[2:3] offset:2304
	ds_read_b128 v[8:11], v2 offset:2304
	ds_read_b128 v[12:15], v2 offset:2496
	v_mad_u64_u32 v[16:17], s[8:9], s4, v22, v[16:17]
	v_add_u32_e32 v17, s7, v17
	s_waitcnt vmcnt(0) lgkmcnt(1)
	v_mul_f64 v[20:21], v[10:11], v[6:7]
	v_mul_f64 v[6:7], v[8:9], v[6:7]
	v_fmac_f64_e32 v[20:21], v[8:9], v[4:5]
	v_fma_f64 v[6:7], v[4:5], v[10:11], -v[6:7]
	v_mul_f64 v[4:5], v[20:21], s[0:1]
	v_mul_f64 v[6:7], v[6:7], s[0:1]
	global_store_dwordx4 v[18:19], v[4:7], off
	global_load_dwordx4 v[4:7], v222, s[2:3] offset:2496
	s_waitcnt vmcnt(0) lgkmcnt(0)
	v_mul_f64 v[8:9], v[14:15], v[6:7]
	v_mul_f64 v[6:7], v[12:13], v[6:7]
	v_fmac_f64_e32 v[8:9], v[12:13], v[4:5]
	v_fma_f64 v[6:7], v[4:5], v[14:15], -v[6:7]
	v_mul_f64 v[4:5], v[8:9], s[0:1]
	v_mul_f64 v[6:7], v[6:7], s[0:1]
	global_store_dwordx4 v[16:17], v[4:7], off
	global_load_dwordx4 v[4:7], v222, s[2:3] offset:2688
	ds_read_b128 v[8:11], v2 offset:2688
	ds_read_b128 v[12:15], v2 offset:2880
	v_mad_u64_u32 v[16:17], s[8:9], s4, v3, v[16:17]
	v_add_u32_e32 v17, s6, v17
	s_waitcnt vmcnt(0) lgkmcnt(1)
	v_mul_f64 v[18:19], v[10:11], v[6:7]
	v_mul_f64 v[6:7], v[8:9], v[6:7]
	v_fmac_f64_e32 v[18:19], v[8:9], v[4:5]
	v_fma_f64 v[6:7], v[4:5], v[10:11], -v[6:7]
	v_mul_f64 v[4:5], v[18:19], s[0:1]
	v_mul_f64 v[6:7], v[6:7], s[0:1]
	global_store_dwordx4 v[16:17], v[4:7], off
	global_load_dwordx4 v[4:7], v222, s[2:3] offset:2880
	v_mad_u64_u32 v[8:9], s[8:9], s4, v3, v[16:17]
	v_add_u32_e32 v9, s6, v9
	v_or_b32_e32 v3, 0xc0, v178
	s_waitcnt vmcnt(0) lgkmcnt(0)
	v_mul_f64 v[10:11], v[14:15], v[6:7]
	v_mul_f64 v[6:7], v[12:13], v[6:7]
	v_fmac_f64_e32 v[10:11], v[12:13], v[4:5]
	v_fma_f64 v[6:7], v[4:5], v[14:15], -v[6:7]
	v_mul_f64 v[4:5], v[10:11], s[0:1]
	v_mul_f64 v[6:7], v[6:7], s[0:1]
	global_store_dwordx4 v[8:9], v[4:7], off
	global_load_dwordx4 v[4:7], v222, s[2:3] offset:3072
	ds_read_b128 v[8:11], v2 offset:3072
	v_mad_u64_u32 v[12:13], s[2:3], s4, v3, 0
	v_mov_b32_e32 v2, v13
	v_mad_u64_u32 v[2:3], s[2:3], s5, v3, v[2:3]
	v_mov_b32_e32 v13, v2
	v_lshl_add_u64 v[0:1], v[12:13], 4, v[0:1]
	s_waitcnt vmcnt(0) lgkmcnt(0)
	v_mul_f64 v[2:3], v[10:11], v[6:7]
	v_mul_f64 v[6:7], v[8:9], v[6:7]
	v_fmac_f64_e32 v[2:3], v[8:9], v[4:5]
	v_fma_f64 v[4:5], v[4:5], v[10:11], -v[6:7]
	v_mul_f64 v[2:3], v[2:3], s[0:1]
	v_mul_f64 v[4:5], v[4:5], s[0:1]
	global_store_dwordx4 v[0:1], v[2:5], off
.LBB0_15:
	s_endpgm
	.section	.rodata,"a",@progbits
	.p2align	6, 0x0
	.amdhsa_kernel bluestein_single_fwd_len204_dim1_dp_op_CI_CI
		.amdhsa_group_segment_fixed_size 22848
		.amdhsa_private_segment_fixed_size 0
		.amdhsa_kernarg_size 104
		.amdhsa_user_sgpr_count 2
		.amdhsa_user_sgpr_dispatch_ptr 0
		.amdhsa_user_sgpr_queue_ptr 0
		.amdhsa_user_sgpr_kernarg_segment_ptr 1
		.amdhsa_user_sgpr_dispatch_id 0
		.amdhsa_user_sgpr_kernarg_preload_length 0
		.amdhsa_user_sgpr_kernarg_preload_offset 0
		.amdhsa_user_sgpr_private_segment_size 0
		.amdhsa_uses_dynamic_stack 0
		.amdhsa_enable_private_segment 0
		.amdhsa_system_sgpr_workgroup_id_x 1
		.amdhsa_system_sgpr_workgroup_id_y 0
		.amdhsa_system_sgpr_workgroup_id_z 0
		.amdhsa_system_sgpr_workgroup_info 0
		.amdhsa_system_vgpr_workitem_id 0
		.amdhsa_next_free_vgpr 370
		.amdhsa_next_free_sgpr 60
		.amdhsa_accum_offset 256
		.amdhsa_reserve_vcc 1
		.amdhsa_float_round_mode_32 0
		.amdhsa_float_round_mode_16_64 0
		.amdhsa_float_denorm_mode_32 3
		.amdhsa_float_denorm_mode_16_64 3
		.amdhsa_dx10_clamp 1
		.amdhsa_ieee_mode 1
		.amdhsa_fp16_overflow 0
		.amdhsa_tg_split 0
		.amdhsa_exception_fp_ieee_invalid_op 0
		.amdhsa_exception_fp_denorm_src 0
		.amdhsa_exception_fp_ieee_div_zero 0
		.amdhsa_exception_fp_ieee_overflow 0
		.amdhsa_exception_fp_ieee_underflow 0
		.amdhsa_exception_fp_ieee_inexact 0
		.amdhsa_exception_int_div_zero 0
	.end_amdhsa_kernel
	.text
.Lfunc_end0:
	.size	bluestein_single_fwd_len204_dim1_dp_op_CI_CI, .Lfunc_end0-bluestein_single_fwd_len204_dim1_dp_op_CI_CI
                                        ; -- End function
	.section	.AMDGPU.csdata,"",@progbits
; Kernel info:
; codeLenInByte = 23260
; NumSgprs: 66
; NumVgprs: 256
; NumAgprs: 114
; TotalNumVgprs: 370
; ScratchSize: 0
; MemoryBound: 0
; FloatMode: 240
; IeeeMode: 1
; LDSByteSize: 22848 bytes/workgroup (compile time only)
; SGPRBlocks: 8
; VGPRBlocks: 46
; NumSGPRsForWavesPerEU: 66
; NumVGPRsForWavesPerEU: 370
; AccumOffset: 256
; Occupancy: 1
; WaveLimiterHint : 1
; COMPUTE_PGM_RSRC2:SCRATCH_EN: 0
; COMPUTE_PGM_RSRC2:USER_SGPR: 2
; COMPUTE_PGM_RSRC2:TRAP_HANDLER: 0
; COMPUTE_PGM_RSRC2:TGID_X_EN: 1
; COMPUTE_PGM_RSRC2:TGID_Y_EN: 0
; COMPUTE_PGM_RSRC2:TGID_Z_EN: 0
; COMPUTE_PGM_RSRC2:TIDIG_COMP_CNT: 0
; COMPUTE_PGM_RSRC3_GFX90A:ACCUM_OFFSET: 63
; COMPUTE_PGM_RSRC3_GFX90A:TG_SPLIT: 0
	.text
	.p2alignl 6, 3212836864
	.fill 256, 4, 3212836864
	.type	__hip_cuid_8769453ade9115aa,@object ; @__hip_cuid_8769453ade9115aa
	.section	.bss,"aw",@nobits
	.globl	__hip_cuid_8769453ade9115aa
__hip_cuid_8769453ade9115aa:
	.byte	0                               ; 0x0
	.size	__hip_cuid_8769453ade9115aa, 1

	.ident	"AMD clang version 19.0.0git (https://github.com/RadeonOpenCompute/llvm-project roc-6.4.0 25133 c7fe45cf4b819c5991fe208aaa96edf142730f1d)"
	.section	".note.GNU-stack","",@progbits
	.addrsig
	.addrsig_sym __hip_cuid_8769453ade9115aa
	.amdgpu_metadata
---
amdhsa.kernels:
  - .agpr_count:     114
    .args:
      - .actual_access:  read_only
        .address_space:  global
        .offset:         0
        .size:           8
        .value_kind:     global_buffer
      - .actual_access:  read_only
        .address_space:  global
        .offset:         8
        .size:           8
        .value_kind:     global_buffer
      - .actual_access:  read_only
        .address_space:  global
        .offset:         16
        .size:           8
        .value_kind:     global_buffer
      - .actual_access:  read_only
        .address_space:  global
        .offset:         24
        .size:           8
        .value_kind:     global_buffer
      - .actual_access:  read_only
        .address_space:  global
        .offset:         32
        .size:           8
        .value_kind:     global_buffer
      - .offset:         40
        .size:           8
        .value_kind:     by_value
      - .address_space:  global
        .offset:         48
        .size:           8
        .value_kind:     global_buffer
      - .address_space:  global
        .offset:         56
        .size:           8
        .value_kind:     global_buffer
      - .address_space:  global
        .offset:         64
        .size:           8
        .value_kind:     global_buffer
      - .address_space:  global
        .offset:         72
        .size:           8
        .value_kind:     global_buffer
      - .offset:         80
        .size:           4
        .value_kind:     by_value
      - .address_space:  global
        .offset:         88
        .size:           8
        .value_kind:     global_buffer
      - .address_space:  global
        .offset:         96
        .size:           8
        .value_kind:     global_buffer
    .group_segment_fixed_size: 22848
    .kernarg_segment_align: 8
    .kernarg_segment_size: 104
    .language:       OpenCL C
    .language_version:
      - 2
      - 0
    .max_flat_workgroup_size: 119
    .name:           bluestein_single_fwd_len204_dim1_dp_op_CI_CI
    .private_segment_fixed_size: 0
    .sgpr_count:     66
    .sgpr_spill_count: 0
    .symbol:         bluestein_single_fwd_len204_dim1_dp_op_CI_CI.kd
    .uniform_work_group_size: 1
    .uses_dynamic_stack: false
    .vgpr_count:     370
    .vgpr_spill_count: 0
    .wavefront_size: 64
amdhsa.target:   amdgcn-amd-amdhsa--gfx950
amdhsa.version:
  - 1
  - 2
...

	.end_amdgpu_metadata
